;; amdgpu-corpus repo=ROCm/rocFFT kind=compiled arch=gfx906 opt=O3
	.text
	.amdgcn_target "amdgcn-amd-amdhsa--gfx906"
	.amdhsa_code_object_version 6
	.protected	bluestein_single_fwd_len476_dim1_dp_op_CI_CI ; -- Begin function bluestein_single_fwd_len476_dim1_dp_op_CI_CI
	.globl	bluestein_single_fwd_len476_dim1_dp_op_CI_CI
	.p2align	8
	.type	bluestein_single_fwd_len476_dim1_dp_op_CI_CI,@function
bluestein_single_fwd_len476_dim1_dp_op_CI_CI: ; @bluestein_single_fwd_len476_dim1_dp_op_CI_CI
; %bb.0:
	s_mov_b64 s[62:63], s[2:3]
	v_mul_u32_u24_e32 v1, 0x788, v0
	s_mov_b64 s[60:61], s[0:1]
	s_load_dwordx4 s[0:3], s[4:5], 0x28
	v_lshrrev_b32_e32 v1, 16, v1
	s_add_u32 s60, s60, s7
	v_mad_u64_u32 v[166:167], s[6:7], s6, 3, v[1:2]
	v_mov_b32_e32 v167, 0
	s_addc_u32 s61, s61, 0
	s_waitcnt lgkmcnt(0)
	v_cmp_gt_u64_e32 vcc, s[0:1], v[166:167]
	s_and_saveexec_b64 s[0:1], vcc
	s_cbranch_execz .LBB0_15
; %bb.1:
	s_mov_b32 s0, 0xaaaaaaab
	v_mul_hi_u32 v2, v166, s0
	v_mul_lo_u16_e32 v1, 34, v1
	s_load_dwordx2 s[12:13], s[4:5], 0x0
	s_load_dwordx2 s[14:15], s[4:5], 0x38
	v_sub_u16_e32 v184, v0, v1
	v_lshrrev_b32_e32 v0, 1, v2
	v_lshl_add_u32 v0, v0, 1, v0
	v_sub_u32_e32 v0, v166, v0
	v_mul_u32_u24_e32 v255, 0x1dc, v0
	v_cmp_gt_u16_e32 vcc, 28, v184
	v_lshlrev_b32_e32 v254, 4, v184
	v_lshlrev_b32_e32 v167, 4, v255
	s_and_saveexec_b64 s[6:7], vcc
	s_cbranch_execz .LBB0_3
; %bb.2:
	s_load_dwordx2 s[0:1], s[4:5], 0x18
	s_waitcnt lgkmcnt(0)
	v_mov_b32_e32 v44, s13
	v_or_b32_e32 v46, 0xe0, v184
	v_mov_b32_e32 v63, 0x380
	v_or_b32_e32 v134, 0x1c0, v184
	s_load_dwordx4 s[8:11], s[0:1], 0x0
	s_waitcnt lgkmcnt(0)
	v_mad_u64_u32 v[0:1], s[0:1], s10, v166, 0
	v_mad_u64_u32 v[2:3], s[0:1], s8, v184, 0
	s_mul_hi_u32 s10, s8, 0x1c0
	v_mad_u64_u32 v[4:5], s[0:1], s11, v166, v[1:2]
	s_mul_i32 s11, s9, 0x380
	v_mad_u64_u32 v[5:6], s[0:1], s9, v184, v[3:4]
	v_mov_b32_e32 v1, v4
	v_lshlrev_b64 v[0:1], 4, v[0:1]
	v_mov_b32_e32 v3, v5
	v_mov_b32_e32 v6, s3
	v_lshlrev_b64 v[2:3], 4, v[2:3]
	v_add_co_u32_e64 v20, s[0:1], s2, v0
	v_addc_co_u32_e64 v21, s[0:1], v6, v1, s[0:1]
	v_add_co_u32_e64 v42, s[0:1], v20, v2
	v_addc_co_u32_e64 v43, s[0:1], v21, v3, s[0:1]
	;; [unrolled: 2-line block ×3, first 2 shown]
	v_mad_u64_u32 v[44:45], s[0:1], s8, v46, 0
	s_mul_i32 s3, s9, 0x1c0
	s_mul_i32 s2, s8, 0x1c0
	v_mad_u64_u32 v[45:46], s[0:1], s9, v46, v[45:46]
	s_add_i32 s3, s10, s3
	v_mov_b32_e32 v47, s3
	v_lshlrev_b64 v[44:45], 4, v[44:45]
	global_load_dwordx4 v[0:3], v254, s[12:13]
	global_load_dwordx4 v[4:7], v[42:43], off
	v_add_co_u32_e64 v44, s[0:1], v20, v44
	v_addc_co_u32_e64 v45, s[0:1], v21, v45, s[0:1]
	v_add_co_u32_e64 v49, s[0:1], s2, v42
	v_addc_co_u32_e64 v50, s[0:1], v43, v47, s[0:1]
	v_mov_b32_e32 v52, s3
	v_add_co_u32_e64 v51, s[0:1], s2, v49
	v_addc_co_u32_e64 v52, s[0:1], v50, v52, s[0:1]
	v_mov_b32_e32 v53, s3
	;; [unrolled: 3-line block ×6, first 2 shown]
	v_add_co_u32_e64 v78, s[0:1], s2, v76
	v_addc_co_u32_e64 v79, s[0:1], v77, v66, s[0:1]
	v_mad_u64_u32 v[82:83], s[0:1], s8, v63, v[78:79]
	global_load_dwordx4 v[8:11], v254, s[12:13] offset:448
	global_load_dwordx4 v[12:15], v254, s[12:13] offset:896
	;; [unrolled: 1-line block ×7, first 2 shown]
	v_mov_b32_e32 v84, s3
	global_load_dwordx4 v[42:45], v[44:45], off
	v_add_u32_e32 v83, s11, v83
	global_load_dwordx4 v[46:49], v[49:50], off
	v_add_co_u32_e64 v86, s[0:1], s2, v82
	global_load_dwordx4 v[50:53], v[51:52], off
	v_addc_co_u32_e64 v87, s[0:1], v83, v84, s[0:1]
	global_load_dwordx4 v[54:57], v[57:58], off
	s_movk_i32 s0, 0x1000
	global_load_dwordx4 v[58:61], v[61:62], off
	v_add_co_u32_e64 v126, s[0:1], s0, v88
	v_addc_co_u32_e64 v127, s[0:1], 0, v89, s[0:1]
	v_mov_b32_e32 v88, s3
	v_add_co_u32_e64 v98, s[0:1], s2, v86
	v_addc_co_u32_e64 v99, s[0:1], v87, v88, s[0:1]
	v_mov_b32_e32 v100, s3
	v_add_co_u32_e64 v102, s[0:1], s2, v98
	v_addc_co_u32_e64 v103, s[0:1], v99, v100, s[0:1]
	global_load_dwordx4 v[38:41], v254, s[12:13] offset:3584
	global_load_dwordx4 v[62:65], v[74:75], off
	global_load_dwordx4 v[66:69], v[76:77], off
	;; [unrolled: 1-line block ×3, first 2 shown]
	v_mov_b32_e32 v104, s3
	v_add_co_u32_e64 v114, s[0:1], s2, v102
	v_addc_co_u32_e64 v115, s[0:1], v103, v104, s[0:1]
	v_mov_b32_e32 v116, s3
	v_add_co_u32_e64 v118, s[0:1], s2, v114
	v_addc_co_u32_e64 v119, s[0:1], v115, v116, s[0:1]
	v_mad_u64_u32 v[130:131], s[0:1], s8, v134, 0
	global_load_dwordx4 v[74:77], v[82:83], off
	global_load_dwordx4 v[78:81], v254, s[12:13] offset:4032
	v_mov_b32_e32 v120, s3
	global_load_dwordx4 v[82:85], v[86:87], off
	s_nop 0
	global_load_dwordx4 v[86:89], v[98:99], off
	global_load_dwordx4 v[90:93], v[126:127], off offset:384
	global_load_dwordx4 v[94:97], v[126:127], off offset:832
	s_waitcnt vmcnt(22)
	v_mul_f64 v[138:139], v[6:7], v[2:3]
	global_load_dwordx4 v[98:101], v[102:103], off
	s_nop 0
	global_load_dwordx4 v[102:105], v[114:115], off
	global_load_dwordx4 v[106:109], v[126:127], off offset:1280
	global_load_dwordx4 v[110:113], v[126:127], off offset:1728
	s_nop 0
	global_load_dwordx4 v[114:117], v[118:119], off
	v_add_co_u32_e64 v118, s[0:1], s2, v118
	v_addc_co_u32_e64 v119, s[0:1], v119, v120, s[0:1]
	v_mov_b32_e32 v120, v131
	v_mad_u64_u32 v[131:132], s[0:1], s9, v134, v[120:121]
	global_load_dwordx4 v[118:121], v[118:119], off
	s_nop 0
	global_load_dwordx4 v[122:125], v[126:127], off offset:2176
	s_nop 0
	global_load_dwordx4 v[126:129], v[126:127], off offset:2624
	v_lshlrev_b64 v[130:131], 4, v[130:131]
	v_add_co_u32_e64 v20, s[0:1], v20, v130
	v_addc_co_u32_e64 v21, s[0:1], v21, v131, s[0:1]
	global_load_dwordx4 v[130:133], v[20:21], off
	v_lshlrev_b32_e32 v20, 4, v134
	global_load_dwordx4 v[134:137], v20, s[12:13]
	v_mul_f64 v[20:21], v[4:5], v[2:3]
	v_fma_f64 v[2:3], v[4:5], v[0:1], v[138:139]
	v_fma_f64 v[4:5], v[6:7], v[0:1], -v[20:21]
	v_lshl_add_u32 v6, v184, 4, v167
	s_waitcnt vmcnt(23)
	v_mul_f64 v[0:1], v[48:49], v[10:11]
	ds_write_b128 v6, v[2:5]
	v_mul_f64 v[2:3], v[46:47], v[10:11]
	s_waitcnt vmcnt(22)
	v_mul_f64 v[4:5], v[52:53], v[14:15]
	v_mul_f64 v[6:7], v[50:51], v[14:15]
	s_waitcnt vmcnt(21)
	v_mul_f64 v[10:11], v[56:57], v[18:19]
	;; [unrolled: 3-line block ×3, first 2 shown]
	v_mul_f64 v[20:21], v[58:59], v[24:25]
	v_fma_f64 v[0:1], v[46:47], v[8:9], v[0:1]
	v_fma_f64 v[2:3], v[48:49], v[8:9], -v[2:3]
	v_fma_f64 v[4:5], v[50:51], v[12:13], v[4:5]
	v_fma_f64 v[6:7], v[52:53], v[12:13], -v[6:7]
	;; [unrolled: 2-line block ×4, first 2 shown]
	v_add_u32_e32 v46, v167, v254
	s_waitcnt vmcnt(18)
	v_mul_f64 v[16:17], v[64:65], v[28:29]
	v_mul_f64 v[18:19], v[62:63], v[28:29]
	s_waitcnt vmcnt(17)
	v_mul_f64 v[20:21], v[68:69], v[32:33]
	v_mul_f64 v[22:23], v[66:67], v[32:33]
	;; [unrolled: 3-line block ×3, first 2 shown]
	v_mul_f64 v[32:33], v[44:45], v[40:41]
	v_mul_f64 v[36:37], v[42:43], v[40:41]
	v_fma_f64 v[16:17], v[62:63], v[26:27], v[16:17]
	v_fma_f64 v[18:19], v[64:65], v[26:27], -v[18:19]
	v_fma_f64 v[20:21], v[66:67], v[30:31], v[20:21]
	v_fma_f64 v[22:23], v[68:69], v[30:31], -v[22:23]
	;; [unrolled: 2-line block ×4, first 2 shown]
	ds_write_b128 v46, v[0:3] offset:448
	ds_write_b128 v46, v[4:7] offset:896
	;; [unrolled: 1-line block ×8, first 2 shown]
	s_waitcnt vmcnt(14)
	v_mul_f64 v[0:1], v[76:77], v[80:81]
	v_mul_f64 v[2:3], v[74:75], v[80:81]
	s_waitcnt vmcnt(11)
	v_mul_f64 v[4:5], v[84:85], v[92:93]
	v_mul_f64 v[6:7], v[82:83], v[92:93]
	;; [unrolled: 3-line block ×5, first 2 shown]
	v_fma_f64 v[0:1], v[74:75], v[78:79], v[0:1]
	v_fma_f64 v[2:3], v[76:77], v[78:79], -v[2:3]
	v_fma_f64 v[4:5], v[82:83], v[90:91], v[4:5]
	v_fma_f64 v[6:7], v[84:85], v[90:91], -v[6:7]
	s_waitcnt vmcnt(3)
	v_mul_f64 v[20:21], v[116:117], v[124:125]
	v_mul_f64 v[22:23], v[114:115], v[124:125]
	s_waitcnt vmcnt(2)
	v_mul_f64 v[24:25], v[120:121], v[128:129]
	v_mul_f64 v[26:27], v[118:119], v[128:129]
	v_fma_f64 v[8:9], v[86:87], v[94:95], v[8:9]
	v_fma_f64 v[10:11], v[88:89], v[94:95], -v[10:11]
	v_fma_f64 v[12:13], v[98:99], v[106:107], v[12:13]
	v_fma_f64 v[14:15], v[100:101], v[106:107], -v[14:15]
	v_fma_f64 v[16:17], v[102:103], v[110:111], v[16:17]
	v_fma_f64 v[18:19], v[104:105], v[110:111], -v[18:19]
	v_fma_f64 v[20:21], v[114:115], v[122:123], v[20:21]
	s_waitcnt vmcnt(0)
	v_mul_f64 v[28:29], v[132:133], v[136:137]
	v_mul_f64 v[30:31], v[130:131], v[136:137]
	v_fma_f64 v[22:23], v[116:117], v[122:123], -v[22:23]
	v_fma_f64 v[24:25], v[118:119], v[126:127], v[24:25]
	v_fma_f64 v[26:27], v[120:121], v[126:127], -v[26:27]
	v_fma_f64 v[28:29], v[130:131], v[134:135], v[28:29]
	v_fma_f64 v[30:31], v[132:133], v[134:135], -v[30:31]
	ds_write_b128 v46, v[0:3] offset:4032
	ds_write_b128 v46, v[4:7] offset:4480
	;; [unrolled: 1-line block ×8, first 2 shown]
.LBB0_3:
	s_or_b64 exec, exec, s[6:7]
	s_load_dwordx2 s[0:1], s[4:5], 0x20
	s_load_dwordx2 s[2:3], s[4:5], 0x8
	s_waitcnt lgkmcnt(0)
	s_barrier
	s_waitcnt lgkmcnt(0)
                                        ; implicit-def: $vgpr12_vgpr13
                                        ; implicit-def: $vgpr72_vgpr73
                                        ; implicit-def: $vgpr76_vgpr77
                                        ; implicit-def: $vgpr68_vgpr69
                                        ; implicit-def: $vgpr64_vgpr65
                                        ; implicit-def: $vgpr60_vgpr61
                                        ; implicit-def: $vgpr56_vgpr57
                                        ; implicit-def: $vgpr16_vgpr17
                                        ; implicit-def: $vgpr20_vgpr21
                                        ; implicit-def: $vgpr24_vgpr25
                                        ; implicit-def: $vgpr28_vgpr29
                                        ; implicit-def: $vgpr32_vgpr33
                                        ; implicit-def: $vgpr36_vgpr37
                                        ; implicit-def: $vgpr40_vgpr41
                                        ; implicit-def: $vgpr44_vgpr45
                                        ; implicit-def: $vgpr48_vgpr49
                                        ; implicit-def: $vgpr52_vgpr53
	s_and_saveexec_b64 s[4:5], vcc
	s_cbranch_execz .LBB0_5
; %bb.4:
	v_lshl_add_u32 v0, v255, 4, v254
	ds_read_b128 v[12:15], v0
	ds_read_b128 v[72:75], v0 offset:448
	ds_read_b128 v[76:79], v0 offset:896
	;; [unrolled: 1-line block ×16, first 2 shown]
.LBB0_5:
	s_or_b64 exec, exec, s[4:5]
	s_waitcnt lgkmcnt(0)
	v_add_f64 v[120:121], v[74:75], -v[54:55]
	s_mov_b32 s16, 0x5d8e7cdc
	s_mov_b32 s17, 0xbfd71e95
	v_add_f64 v[102:103], v[72:73], v[52:53]
	v_add_f64 v[106:107], v[72:73], -v[52:53]
	v_add_f64 v[142:143], v[78:79], -v[50:51]
	s_mov_b32 s4, 0x370991
	s_mov_b32 s10, 0x2a9d6da3
	v_mul_f64 v[86:87], v[120:121], s[16:17]
	s_mov_b32 s5, 0x3fedd6d0
	s_mov_b32 s11, 0xbfe58eea
	v_add_f64 v[104:105], v[74:75], v[54:55]
	v_mul_f64 v[88:89], v[106:107], s[16:17]
	v_add_f64 v[116:117], v[76:77], v[48:49]
	v_add_f64 v[136:137], v[76:77], -v[48:49]
	v_mul_f64 v[94:95], v[142:143], s[10:11]
	v_fma_f64 v[0:1], v[102:103], s[4:5], v[86:87]
	s_mov_b32 s6, 0x75d4884
	s_mov_b32 s7, 0x3fe7a5f6
	v_mul_f64 v[90:91], v[120:121], s[10:11]
	v_fma_f64 v[2:3], v[104:105], s[4:5], -v[88:89]
	v_add_f64 v[118:119], v[78:79], v[50:51]
	v_mul_f64 v[108:109], v[136:137], s[10:11]
	v_fma_f64 v[80:81], v[116:117], s[6:7], v[94:95]
	v_add_f64 v[0:1], v[12:13], v[0:1]
	s_mov_b32 s26, 0xeb564b22
	s_mov_b32 s27, 0xbfefdd0d
	v_mul_f64 v[92:93], v[106:107], s[10:11]
	v_add_f64 v[2:3], v[14:15], v[2:3]
	v_fma_f64 v[4:5], v[102:103], s[6:7], v[90:91]
	v_mul_f64 v[112:113], v[142:143], s[26:27]
	s_mov_b32 s20, 0x7c9e640b
	v_add_f64 v[0:1], v[80:81], v[0:1]
	v_fma_f64 v[80:81], v[118:119], s[6:7], -v[108:109]
	s_mov_b32 s18, 0x3259b75e
	s_mov_b32 s21, 0xbfeca52d
	;; [unrolled: 1-line block ×3, first 2 shown]
	v_add_f64 v[4:5], v[12:13], v[4:5]
	v_fma_f64 v[6:7], v[104:105], s[6:7], -v[92:93]
	v_mul_f64 v[110:111], v[120:121], s[20:21]
	v_mul_f64 v[124:125], v[136:137], s[26:27]
	v_add_f64 v[2:3], v[80:81], v[2:3]
	v_fma_f64 v[80:81], v[116:117], s[18:19], v[112:113]
	s_mov_b32 s8, 0x2b2883cd
	s_mov_b32 s28, 0x6c9a05f6
	;; [unrolled: 1-line block ×4, first 2 shown]
	v_add_f64 v[6:7], v[14:15], v[6:7]
	v_mul_f64 v[114:115], v[106:107], s[20:21]
	v_fma_f64 v[8:9], v[102:103], s[8:9], v[110:111]
	v_add_f64 v[4:5], v[80:81], v[4:5]
	v_fma_f64 v[80:81], v[118:119], s[18:19], -v[124:125]
	v_mul_f64 v[128:129], v[142:143], s[28:29]
	s_mov_b32 s22, 0x6ed5f1bb
	s_mov_b32 s23, 0xbfe348c8
	v_mul_f64 v[132:133], v[136:137], s[28:29]
	v_fma_f64 v[10:11], v[104:105], s[8:9], -v[114:115]
	v_add_f64 v[8:9], v[12:13], v[8:9]
	v_add_f64 v[162:163], v[70:71], -v[46:47]
	v_add_f64 v[6:7], v[80:81], v[6:7]
	v_fma_f64 v[80:81], v[116:117], s[22:23], v[128:129]
	v_add_f64 v[134:135], v[68:69], v[44:45]
	v_add_f64 v[152:153], v[68:69], -v[44:45]
	v_add_f64 v[138:139], v[70:71], v[46:47]
	v_add_f64 v[10:11], v[14:15], v[10:11]
	s_mov_b32 s34, 0xacd6c6b4
	v_mul_f64 v[122:123], v[162:163], s[20:21]
	v_mul_f64 v[130:131], v[162:163], s[28:29]
	v_add_f64 v[8:9], v[80:81], v[8:9]
	v_fma_f64 v[80:81], v[118:119], s[22:23], -v[132:133]
	v_mul_f64 v[126:127], v[152:153], s[20:21]
	v_mul_f64 v[146:147], v[152:153], s[28:29]
	s_mov_b32 s35, 0x3fc7851a
	v_mul_f64 v[154:155], v[162:163], s[34:35]
	s_mov_b32 s24, 0x7faef3
	s_mov_b32 s25, 0xbfef7484
	v_add_f64 v[182:183], v[66:67], -v[42:43]
	v_add_f64 v[10:11], v[80:81], v[10:11]
	v_fma_f64 v[80:81], v[134:135], s[8:9], v[122:123]
	v_add_f64 v[156:157], v[64:65], v[40:41]
	v_add_f64 v[172:173], v[64:65], -v[40:41]
	v_fma_f64 v[82:83], v[134:135], s[24:25], v[154:155]
	v_add_f64 v[158:159], v[66:67], v[42:43]
	s_mov_b32 s39, 0xbfc7851a
	v_mul_f64 v[98:99], v[182:183], s[26:27]
	s_mov_b32 s38, s34
	v_add_f64 v[80:81], v[80:81], v[0:1]
	v_fma_f64 v[0:1], v[138:139], s[8:9], -v[126:127]
	v_mul_f64 v[150:151], v[172:173], s[26:27]
	v_add_f64 v[8:9], v[82:83], v[8:9]
	v_mul_f64 v[160:161], v[182:183], s[38:39]
	s_mov_b32 s42, 0x923c349f
	s_mov_b32 s43, 0x3feec746
	v_mul_f64 v[180:181], v[182:183], s[42:43]
	s_mov_b32 s30, 0xc61f0d01
	v_add_f64 v[2:3], v[0:1], v[2:3]
	v_fma_f64 v[0:1], v[134:135], s[22:23], v[130:131]
	s_mov_b32 s31, 0xbfd183b1
	v_fma_f64 v[84:85], v[156:157], s[24:25], v[160:161]
	v_mul_f64 v[185:186], v[172:173], s[42:43]
	v_add_f64 v[203:204], v[62:63], -v[38:39]
	s_mov_b32 s47, 0xbfeec746
	s_mov_b32 s46, s42
	v_add_f64 v[176:177], v[60:61], v[36:37]
	v_add_f64 v[4:5], v[0:1], v[4:5]
	v_fma_f64 v[0:1], v[138:139], s[22:23], -v[146:147]
	v_add_f64 v[195:196], v[60:61], -v[36:37]
	v_add_f64 v[178:179], v[62:63], v[38:39]
	v_mul_f64 v[100:101], v[203:204], s[46:47]
	s_mov_b32 s48, 0x4363dd80
	s_mov_b32 s49, 0x3fe0d888
	v_mul_f64 v[174:175], v[203:204], s[48:49]
	v_add_f64 v[4:5], v[84:85], v[4:5]
	v_add_f64 v[6:7], v[0:1], v[6:7]
	v_mul_f64 v[0:1], v[152:153], s[34:35]
	v_mul_f64 v[164:165], v[195:196], s[46:47]
	s_mov_b32 s36, 0x910ea3b9
	s_mov_b32 s37, 0xbfeb34fa
	v_mul_f64 v[187:188], v[195:196], s[48:49]
	s_mov_b32 s41, 0x3fe58eea
	s_mov_b32 s40, s10
	v_mul_f64 v[197:198], v[203:204], s[40:41]
	v_fma_f64 v[82:83], v[138:139], s[24:25], -v[0:1]
	v_mul_f64 v[205:206], v[195:196], s[40:41]
	v_add_f64 v[233:234], v[58:59], -v[34:35]
	v_add_f64 v[199:200], v[56:57], v[32:33]
	v_add_f64 v[217:218], v[56:57], -v[32:33]
	v_add_f64 v[201:202], v[58:59], v[34:35]
	v_add_f64 v[249:250], v[18:19], -v[30:31]
	s_mov_b32 s51, 0xbfe0d888
	v_add_f64 v[10:11], v[82:83], v[10:11]
	v_fma_f64 v[82:83], v[156:157], s[18:19], v[98:99]
	v_mul_f64 v[189:190], v[233:234], s[28:29]
	v_mul_f64 v[193:194], v[233:234], s[42:43]
	;; [unrolled: 1-line block ×6, first 2 shown]
	s_mov_b32 s50, s48
	v_add_f64 v[80:81], v[82:83], v[80:81]
	v_fma_f64 v[82:83], v[158:159], s[18:19], -v[150:151]
	v_add_f64 v[219:220], v[16:17], v[28:29]
	v_add_f64 v[241:242], v[16:17], -v[28:29]
	v_mul_f64 v[207:208], v[249:250], s[50:51]
	v_add_f64 v[221:222], v[18:19], v[30:31]
	s_mov_b32 s53, 0x3feca52d
	s_mov_b32 s52, s20
	v_mul_f64 v[215:216], v[249:250], s[52:53]
	v_add_f64 v[82:83], v[82:83], v[2:3]
	v_mul_f64 v[2:3], v[172:173], s[38:39]
	v_mul_f64 v[211:212], v[241:242], s[50:51]
	;; [unrolled: 1-line block ×5, first 2 shown]
	v_add_f64 v[243:244], v[22:23], -v[26:27]
	v_add_f64 v[235:236], v[20:21], v[24:25]
	v_add_f64 v[96:97], v[20:21], -v[24:25]
	v_fma_f64 v[84:85], v[158:159], s[24:25], -v[2:3]
	v_add_f64 v[239:240], v[22:23], v[26:27]
	s_mov_b32 s55, 0x3fd71e95
	s_mov_b32 s54, s16
	v_mul_f64 v[223:224], v[243:244], s[38:39]
	v_mul_f64 v[237:238], v[243:244], s[54:55]
	;; [unrolled: 1-line block ×3, first 2 shown]
	v_add_f64 v[6:7], v[84:85], v[6:7]
	v_fma_f64 v[84:85], v[156:157], s[30:31], v[180:181]
	v_mul_f64 v[247:248], v[96:97], s[54:55]
	v_mul_f64 v[148:149], v[243:244], s[50:51]
	v_mul_f64 v[251:252], v[96:97], s[50:51]
	v_add_f64 v[8:9], v[84:85], v[8:9]
	v_fma_f64 v[84:85], v[158:159], s[30:31], -v[185:186]
	v_add_f64 v[10:11], v[84:85], v[10:11]
	v_fma_f64 v[84:85], v[176:177], s[30:31], v[100:101]
	v_add_f64 v[80:81], v[84:85], v[80:81]
	v_fma_f64 v[84:85], v[178:179], s[30:31], -v[164:165]
	v_add_f64 v[82:83], v[84:85], v[82:83]
	v_fma_f64 v[84:85], v[176:177], s[36:37], v[174:175]
	;; [unrolled: 4-line block ×12, first 2 shown]
	buffer_store_dword v80, off, s[60:63], 0 ; 4-byte Folded Spill
	s_nop 0
	buffer_store_dword v81, off, s[60:63], 0 offset:4 ; 4-byte Folded Spill
	buffer_store_dword v82, off, s[60:63], 0 offset:8 ; 4-byte Folded Spill
	;; [unrolled: 1-line block ×3, first 2 shown]
	v_add_f64 v[6:7], v[4:5], v[8:9]
	v_fma_f64 v[4:5], v[239:240], s[36:37], -v[251:252]
	v_add_f64 v[8:9], v[4:5], v[10:11]
	buffer_store_dword v6, off, s[60:63], 0 offset:16 ; 4-byte Folded Spill
	s_nop 0
	buffer_store_dword v7, off, s[60:63], 0 offset:20 ; 4-byte Folded Spill
	buffer_store_dword v8, off, s[60:63], 0 offset:24 ; 4-byte Folded Spill
	;; [unrolled: 1-line block ×3, first 2 shown]
	s_waitcnt vmcnt(0)
	s_barrier
	s_and_saveexec_b64 s[44:45], vcc
	s_cbranch_execz .LBB0_7
; %bb.6:
	v_mul_f64 v[4:5], v[104:105], s[24:25]
	v_mul_f64 v[84:85], v[118:119], s[4:5]
	buffer_store_dword v86, off, s[60:63], 0 offset:48 ; 4-byte Folded Spill
	s_nop 0
	buffer_store_dword v87, off, s[60:63], 0 offset:52 ; 4-byte Folded Spill
	v_mul_f64 v[86:87], v[120:121], s[38:39]
	buffer_store_dword v88, off, s[60:63], 0 offset:64 ; 4-byte Folded Spill
	s_nop 0
	buffer_store_dword v89, off, s[60:63], 0 offset:68 ; 4-byte Folded Spill
	;; [unrolled: 4-line block ×3, first 2 shown]
	v_mul_f64 v[90:91], v[138:139], s[36:37]
	v_fma_f64 v[6:7], v[106:107], s[34:35], v[4:5]
	v_fma_f64 v[80:81], v[136:137], s[16:17], v[84:85]
	;; [unrolled: 1-line block ×4, first 2 shown]
	buffer_store_dword v92, off, s[60:63], 0 offset:136 ; 4-byte Folded Spill
	s_nop 0
	buffer_store_dword v93, off, s[60:63], 0 offset:140 ; 4-byte Folded Spill
	v_fma_f64 v[82:83], v[116:117], s[4:5], v[88:89]
	v_mul_f64 v[92:93], v[162:163], s[50:51]
	buffer_store_dword v94, off, s[60:63], 0 offset:72 ; 4-byte Folded Spill
	s_nop 0
	buffer_store_dword v95, off, s[60:63], 0 offset:76 ; 4-byte Folded Spill
	v_add_f64 v[6:7], v[14:15], v[6:7]
	v_mul_f64 v[94:95], v[158:159], s[6:7]
	v_add_f64 v[4:5], v[14:15], v[4:5]
	v_mov_b32_e32 v8, v166
	v_mov_b32_e32 v11, v167
	v_mul_f64 v[166:167], v[182:183], s[40:41]
	buffer_store_dword v168, off, s[60:63], 0 offset:32 ; 4-byte Folded Spill
	s_nop 0
	buffer_store_dword v169, off, s[60:63], 0 offset:36 ; 4-byte Folded Spill
	buffer_store_dword v170, off, s[60:63], 0 offset:40 ; 4-byte Folded Spill
	;; [unrolled: 1-line block ×3, first 2 shown]
	v_mul_f64 v[168:169], v[178:179], s[22:23]
	v_add_f64 v[6:7], v[80:81], v[6:7]
	v_fma_f64 v[80:81], v[102:103], s[24:25], v[86:87]
	v_add_f64 v[4:5], v[84:85], v[4:5]
	v_fma_f64 v[84:85], v[102:103], s[24:25], -v[86:87]
	v_fma_f64 v[86:87], v[116:117], s[4:5], -v[88:89]
	s_mov_b32 s57, 0x3fe9895b
	s_mov_b32 s56, s28
	buffer_store_dword v108, off, s[60:63], 0 offset:88 ; 4-byte Folded Spill
	s_nop 0
	buffer_store_dword v109, off, s[60:63], 0 offset:92 ; 4-byte Folded Spill
	v_mul_f64 v[170:171], v[203:204], s[28:29]
	v_add_f64 v[80:81], v[12:13], v[80:81]
	v_mul_f64 v[108:109], v[201:202], s[8:9]
	v_add_f64 v[84:85], v[12:13], v[84:85]
	buffer_store_dword v110, off, s[60:63], 0 offset:152 ; 4-byte Folded Spill
	s_nop 0
	buffer_store_dword v111, off, s[60:63], 0 offset:156 ; 4-byte Folded Spill
	buffer_store_dword v112, off, s[60:63], 0 offset:120 ; 4-byte Folded Spill
	s_nop 0
	buffer_store_dword v113, off, s[60:63], 0 offset:124 ; 4-byte Folded Spill
	v_mul_f64 v[112:113], v[221:222], s[30:31]
	v_mul_f64 v[110:111], v[233:234], s[52:53]
	buffer_store_dword v114, off, s[60:63], 0 offset:168 ; 4-byte Folded Spill
	s_nop 0
	buffer_store_dword v115, off, s[60:63], 0 offset:172 ; 4-byte Folded Spill
	v_add_f64 v[80:81], v[82:83], v[80:81]
	v_fma_f64 v[82:83], v[152:153], s[48:49], v[90:91]
	v_add_f64 v[84:85], v[86:87], v[84:85]
	v_fma_f64 v[86:87], v[152:153], s[50:51], v[90:91]
	v_mul_f64 v[114:115], v[249:250], s[46:47]
	buffer_store_dword v122, off, s[60:63], 0 offset:104 ; 4-byte Folded Spill
	s_nop 0
	buffer_store_dword v123, off, s[60:63], 0 offset:108 ; 4-byte Folded Spill
	v_mul_f64 v[122:123], v[239:240], s[18:19]
	s_mov_b32 s59, 0x3fefdd0d
	s_mov_b32 s58, s26
	v_add_f64 v[6:7], v[82:83], v[6:7]
	v_fma_f64 v[82:83], v[134:135], s[36:37], v[92:93]
	v_add_f64 v[4:5], v[86:87], v[4:5]
	v_fma_f64 v[86:87], v[134:135], s[36:37], -v[92:93]
	buffer_store_dword v124, off, s[60:63], 0 offset:160 ; 4-byte Folded Spill
	s_nop 0
	buffer_store_dword v125, off, s[60:63], 0 offset:164 ; 4-byte Folded Spill
	v_mul_f64 v[92:93], v[118:119], s[8:9]
	buffer_store_dword v126, off, s[60:63], 0 offset:176 ; 4-byte Folded Spill
	s_nop 0
	buffer_store_dword v127, off, s[60:63], 0 offset:180 ; 4-byte Folded Spill
	v_mul_f64 v[126:127], v[233:234], s[38:39]
	buffer_store_dword v128, off, s[60:63], 0 offset:192 ; 4-byte Folded Spill
	s_nop 0
	buffer_store_dword v129, off, s[60:63], 0 offset:196 ; 4-byte Folded Spill
	v_add_f64 v[80:81], v[82:83], v[80:81]
	v_fma_f64 v[82:83], v[172:173], s[10:11], v[94:95]
	v_add_f64 v[84:85], v[86:87], v[84:85]
	v_fma_f64 v[86:87], v[172:173], s[40:41], v[94:95]
	v_fma_f64 v[88:89], v[136:137], s[20:21], v[92:93]
	v_mul_f64 v[94:95], v[138:139], s[18:19]
	v_fma_f64 v[92:93], v[136:137], s[52:53], v[92:93]
	v_mul_f64 v[128:129], v[249:250], s[40:41]
	buffer_store_dword v130, off, s[60:63], 0 offset:184 ; 4-byte Folded Spill
	s_nop 0
	buffer_store_dword v131, off, s[60:63], 0 offset:188 ; 4-byte Folded Spill
	v_add_f64 v[6:7], v[82:83], v[6:7]
	v_fma_f64 v[82:83], v[156:157], s[6:7], v[166:167]
	v_add_f64 v[4:5], v[86:87], v[4:5]
	v_fma_f64 v[86:87], v[195:196], s[28:29], v[168:169]
	v_mul_f64 v[130:131], v[239:240], s[30:31]
	v_mov_b32_e32 v9, v132
	v_mov_b32_e32 v10, v133
	v_mul_f64 v[140:141], v[239:240], s[8:9]
	v_mul_f64 v[144:145], v[243:244], s[52:53]
	v_add_f64 v[80:81], v[82:83], v[80:81]
	v_fma_f64 v[82:83], v[195:196], s[56:57], v[168:169]
	v_add_f64 v[4:5], v[86:87], v[4:5]
	v_fma_f64 v[86:87], v[217:218], s[52:53], v[108:109]
	v_mul_f64 v[168:169], v[182:183], s[56:57]
	v_add_f64 v[6:7], v[82:83], v[6:7]
	v_fma_f64 v[82:83], v[176:177], s[22:23], v[170:171]
	v_add_f64 v[4:5], v[86:87], v[4:5]
	v_fma_f64 v[86:87], v[241:242], s[46:47], v[112:113]
	;; [unrolled: 2-line block ×3, first 2 shown]
	v_add_f64 v[4:5], v[86:87], v[4:5]
	v_fma_f64 v[86:87], v[156:157], s[6:7], -v[166:167]
	v_mul_f64 v[108:109], v[158:159], s[22:23]
	v_mul_f64 v[166:167], v[162:163], s[26:27]
	v_add_f64 v[6:7], v[82:83], v[6:7]
	v_fma_f64 v[82:83], v[199:200], s[8:9], v[110:111]
	v_add_f64 v[84:85], v[86:87], v[84:85]
	v_fma_f64 v[86:87], v[176:177], s[22:23], -v[170:171]
	v_mul_f64 v[170:171], v[203:204], s[16:17]
	v_add_f64 v[80:81], v[82:83], v[80:81]
	v_fma_f64 v[82:83], v[241:242], s[42:43], v[112:113]
	v_add_f64 v[84:85], v[86:87], v[84:85]
	v_fma_f64 v[86:87], v[199:200], s[8:9], -v[110:111]
	v_mul_f64 v[110:111], v[178:179], s[4:5]
	v_mul_f64 v[112:113], v[201:202], s[24:25]
	v_add_f64 v[6:7], v[82:83], v[6:7]
	v_fma_f64 v[82:83], v[219:220], s[30:31], v[114:115]
	v_add_f64 v[84:85], v[86:87], v[84:85]
	v_fma_f64 v[86:87], v[219:220], s[30:31], -v[114:115]
	v_mul_f64 v[114:115], v[221:222], s[6:7]
	v_add_f64 v[80:81], v[82:83], v[80:81]
	v_fma_f64 v[82:83], v[96:97], s[26:27], v[122:123]
	v_add_f64 v[84:85], v[86:87], v[84:85]
	v_fma_f64 v[86:87], v[96:97], s[58:59], v[122:123]
	v_mul_f64 v[122:123], v[120:121], s[50:51]
	v_add_f64 v[82:83], v[82:83], v[6:7]
	v_mul_f64 v[6:7], v[243:244], s[58:59]
	v_add_f64 v[86:87], v[86:87], v[4:5]
	v_mul_f64 v[4:5], v[104:105], s[36:37]
	v_fma_f64 v[124:125], v[235:236], s[18:19], v[6:7]
	v_fma_f64 v[6:7], v[235:236], s[18:19], -v[6:7]
	v_add_f64 v[80:81], v[124:125], v[80:81]
	v_add_f64 v[84:85], v[6:7], v[84:85]
	v_fma_f64 v[6:7], v[106:107], s[48:49], v[4:5]
	v_fma_f64 v[4:5], v[106:107], s[50:51], v[4:5]
	v_mul_f64 v[124:125], v[142:143], s[52:53]
	v_add_f64 v[6:7], v[14:15], v[6:7]
	v_add_f64 v[4:5], v[14:15], v[4:5]
	v_fma_f64 v[90:91], v[116:117], s[8:9], v[124:125]
	v_add_f64 v[6:7], v[88:89], v[6:7]
	v_fma_f64 v[88:89], v[152:153], s[58:59], v[94:95]
	;; [unrolled: 2-line block ×3, first 2 shown]
	v_fma_f64 v[94:95], v[116:117], s[8:9], -v[124:125]
	v_mul_f64 v[124:125], v[120:121], s[28:29]
	v_add_f64 v[6:7], v[88:89], v[6:7]
	v_fma_f64 v[88:89], v[172:173], s[28:29], v[108:109]
	v_add_f64 v[4:5], v[92:93], v[4:5]
	v_fma_f64 v[92:93], v[172:173], s[56:57], v[108:109]
	v_mul_f64 v[108:109], v[138:139], s[4:5]
	v_add_f64 v[6:7], v[88:89], v[6:7]
	v_fma_f64 v[88:89], v[195:196], s[54:55], v[110:111]
	v_add_f64 v[4:5], v[92:93], v[4:5]
	v_fma_f64 v[92:93], v[195:196], s[16:17], v[110:111]
	;; [unrolled: 5-line block ×4, first 2 shown]
	v_mul_f64 v[114:115], v[201:202], s[6:7]
	v_add_f64 v[6:7], v[88:89], v[6:7]
	v_fma_f64 v[88:89], v[102:103], s[36:37], v[122:123]
	v_add_f64 v[4:5], v[92:93], v[4:5]
	v_fma_f64 v[92:93], v[102:103], s[36:37], -v[122:123]
	v_mul_f64 v[122:123], v[221:222], s[24:25]
	v_add_f64 v[88:89], v[12:13], v[88:89]
	v_add_f64 v[92:93], v[12:13], v[92:93]
	;; [unrolled: 1-line block ×3, first 2 shown]
	v_fma_f64 v[90:91], v[134:135], s[18:19], v[166:167]
	v_add_f64 v[92:93], v[94:95], v[92:93]
	v_fma_f64 v[94:95], v[134:135], s[18:19], -v[166:167]
	v_add_f64 v[88:89], v[90:91], v[88:89]
	v_fma_f64 v[90:91], v[156:157], s[22:23], v[168:169]
	v_add_f64 v[92:93], v[94:95], v[92:93]
	v_fma_f64 v[94:95], v[156:157], s[22:23], -v[168:169]
	v_add_f64 v[88:89], v[90:91], v[88:89]
	;; [unrolled: 4-line block ×3, first 2 shown]
	v_fma_f64 v[90:91], v[199:200], s[24:25], v[126:127]
	v_add_f64 v[92:93], v[94:95], v[92:93]
	v_fma_f64 v[94:95], v[199:200], s[24:25], -v[126:127]
	v_mul_f64 v[126:127], v[142:143], s[42:43]
	v_add_f64 v[88:89], v[90:91], v[88:89]
	v_fma_f64 v[90:91], v[219:220], s[6:7], v[128:129]
	v_add_f64 v[92:93], v[94:95], v[92:93]
	v_fma_f64 v[94:95], v[219:220], s[6:7], -v[128:129]
	v_fma_f64 v[128:129], v[116:117], s[30:31], v[126:127]
	v_add_f64 v[88:89], v[90:91], v[88:89]
	v_fma_f64 v[90:91], v[96:97], s[42:43], v[130:131]
	v_add_f64 v[92:93], v[94:95], v[92:93]
	;; [unrolled: 2-line block ×3, first 2 shown]
	v_mul_f64 v[6:7], v[243:244], s[46:47]
	v_add_f64 v[94:95], v[94:95], v[4:5]
	v_add_f64 v[4:5], v[14:15], v[74:75]
	v_fma_f64 v[132:133], v[235:236], s[30:31], v[6:7]
	v_fma_f64 v[6:7], v[235:236], s[30:31], -v[6:7]
	v_add_f64 v[4:5], v[4:5], v[78:79]
	v_mul_f64 v[78:79], v[118:119], s[30:31]
	v_add_f64 v[88:89], v[132:133], v[88:89]
	v_add_f64 v[92:93], v[6:7], v[92:93]
	;; [unrolled: 1-line block ×3, first 2 shown]
	v_fma_f64 v[74:75], v[136:137], s[46:47], v[78:79]
	v_add_f64 v[4:5], v[4:5], v[70:71]
	v_fma_f64 v[70:71], v[136:137], s[42:43], v[78:79]
	v_fma_f64 v[78:79], v[235:236], s[8:9], -v[144:145]
	v_add_f64 v[6:7], v[6:7], v[76:77]
	v_mul_f64 v[76:77], v[104:105], s[22:23]
	v_add_f64 v[4:5], v[4:5], v[66:67]
	v_add_f64 v[6:7], v[6:7], v[68:69]
	v_fma_f64 v[72:73], v[106:107], s[56:57], v[76:77]
	v_fma_f64 v[68:69], v[106:107], s[28:29], v[76:77]
	v_fma_f64 v[76:77], v[116:117], s[30:31], -v[126:127]
	v_add_f64 v[4:5], v[4:5], v[62:63]
	v_mul_f64 v[126:127], v[142:143], s[48:49]
	v_add_f64 v[6:7], v[6:7], v[64:65]
	v_add_f64 v[72:73], v[14:15], v[72:73]
	;; [unrolled: 1-line block ×6, first 2 shown]
	v_fma_f64 v[74:75], v[152:153], s[54:55], v[108:109]
	v_add_f64 v[68:69], v[70:71], v[68:69]
	v_fma_f64 v[70:71], v[152:153], s[16:17], v[108:109]
	v_mul_f64 v[108:109], v[138:139], s[6:7]
	v_add_f64 v[4:5], v[4:5], v[18:19]
	v_add_f64 v[6:7], v[6:7], v[56:57]
	v_mul_f64 v[56:57], v[104:105], s[18:19]
	v_add_f64 v[72:73], v[74:75], v[72:73]
	v_fma_f64 v[74:75], v[172:173], s[48:49], v[110:111]
	v_add_f64 v[68:69], v[70:71], v[68:69]
	v_fma_f64 v[70:71], v[172:173], s[50:51], v[110:111]
	v_mul_f64 v[110:111], v[158:159], s[8:9]
	v_add_f64 v[4:5], v[4:5], v[22:23]
	v_add_f64 v[6:7], v[6:7], v[16:17]
	v_fma_f64 v[58:59], v[106:107], s[58:59], v[56:57]
	v_fma_f64 v[56:57], v[106:107], s[26:27], v[56:57]
	v_add_f64 v[72:73], v[74:75], v[72:73]
	v_fma_f64 v[74:75], v[195:196], s[26:27], v[112:113]
	v_add_f64 v[68:69], v[70:71], v[68:69]
	v_fma_f64 v[70:71], v[195:196], s[58:59], v[112:113]
	v_mul_f64 v[112:113], v[178:179], s[24:25]
	v_add_f64 v[6:7], v[6:7], v[20:21]
	v_add_f64 v[58:59], v[14:15], v[58:59]
	;; [unrolled: 1-line block ×5, first 2 shown]
	v_fma_f64 v[74:75], v[217:218], s[40:41], v[114:115]
	v_add_f64 v[68:69], v[70:71], v[68:69]
	v_fma_f64 v[70:71], v[217:218], s[10:11], v[114:115]
	v_mul_f64 v[114:115], v[201:202], s[18:19]
	v_add_f64 v[6:7], v[6:7], v[24:25]
	v_add_f64 v[4:5], v[4:5], v[30:31]
	;; [unrolled: 1-line block ×3, first 2 shown]
	v_fma_f64 v[74:75], v[241:242], s[34:35], v[122:123]
	v_add_f64 v[68:69], v[70:71], v[68:69]
	v_fma_f64 v[70:71], v[241:242], s[38:39], v[122:123]
	v_mul_f64 v[122:123], v[221:222], s[4:5]
	v_add_f64 v[6:7], v[6:7], v[28:29]
	v_add_f64 v[4:5], v[4:5], v[34:35]
	;; [unrolled: 1-line block ×3, first 2 shown]
	v_fma_f64 v[74:75], v[102:103], s[22:23], v[124:125]
	v_add_f64 v[68:69], v[70:71], v[68:69]
	v_fma_f64 v[70:71], v[102:103], s[22:23], -v[124:125]
	v_mul_f64 v[124:125], v[120:121], s[46:47]
	v_mul_f64 v[120:121], v[120:121], s[26:27]
	v_add_f64 v[6:7], v[6:7], v[32:33]
	v_add_f64 v[4:5], v[4:5], v[38:39]
	v_add_f64 v[74:75], v[12:13], v[74:75]
	v_add_f64 v[70:71], v[12:13], v[70:71]
	v_add_f64 v[6:7], v[6:7], v[36:37]
	v_add_f64 v[4:5], v[4:5], v[42:43]
	v_add_f64 v[74:75], v[128:129], v[74:75]
	v_mul_f64 v[128:129], v[162:163], s[16:17]
	v_add_f64 v[70:71], v[76:77], v[70:71]
	v_add_f64 v[6:7], v[6:7], v[40:41]
	v_add_f64 v[4:5], v[4:5], v[46:47]
	v_fma_f64 v[130:131], v[134:135], s[4:5], v[128:129]
	v_fma_f64 v[76:77], v[134:135], s[4:5], -v[128:129]
	v_fma_f64 v[128:129], v[116:117], s[36:37], v[126:127]
	v_add_f64 v[6:7], v[6:7], v[44:45]
	v_add_f64 v[4:5], v[4:5], v[50:51]
	;; [unrolled: 1-line block ×3, first 2 shown]
	v_mul_f64 v[130:131], v[182:183], s[50:51]
	v_add_f64 v[70:71], v[76:77], v[70:71]
	v_add_f64 v[6:7], v[6:7], v[48:49]
	v_fma_f64 v[132:133], v[156:157], s[36:37], v[130:131]
	v_fma_f64 v[76:77], v[156:157], s[36:37], -v[130:131]
	v_add_f64 v[74:75], v[132:133], v[74:75]
	v_mul_f64 v[132:133], v[203:204], s[58:59]
	v_add_f64 v[70:71], v[76:77], v[70:71]
	v_fma_f64 v[166:167], v[176:177], s[18:19], v[132:133]
	v_fma_f64 v[76:77], v[176:177], s[18:19], -v[132:133]
	v_add_f64 v[74:75], v[166:167], v[74:75]
	v_mul_f64 v[166:167], v[233:234], s[10:11]
	;; [unrolled: 5-line block ×3, first 2 shown]
	v_add_f64 v[70:71], v[76:77], v[70:71]
	v_fma_f64 v[76:77], v[219:220], s[24:25], -v[168:169]
	v_fma_f64 v[170:171], v[219:220], s[24:25], v[168:169]
	v_mul_f64 v[168:169], v[239:240], s[22:23]
	v_add_f64 v[76:77], v[76:77], v[70:71]
	v_fma_f64 v[70:71], v[96:97], s[52:53], v[140:141]
	v_add_f64 v[170:171], v[170:171], v[74:75]
	v_fma_f64 v[74:75], v[96:97], s[20:21], v[140:141]
	v_add_f64 v[70:71], v[70:71], v[68:69]
	v_add_f64 v[68:69], v[78:79], v[76:77]
	v_mul_f64 v[76:77], v[104:105], s[30:31]
	v_mul_f64 v[78:79], v[118:119], s[36:37]
	v_add_f64 v[74:75], v[74:75], v[72:73]
	v_fma_f64 v[72:73], v[235:236], s[8:9], v[144:145]
	v_fma_f64 v[64:65], v[106:107], s[42:43], v[76:77]
	;; [unrolled: 1-line block ×5, first 2 shown]
	v_fma_f64 v[76:77], v[116:117], s[36:37], -v[126:127]
	v_add_f64 v[72:73], v[72:73], v[170:171]
	v_mul_f64 v[170:171], v[243:244], s[28:29]
	v_mul_f64 v[106:107], v[203:204], s[20:21]
	v_add_f64 v[64:65], v[14:15], v[64:65]
	v_add_f64 v[60:61], v[14:15], v[60:61]
	v_fma_f64 v[78:79], v[235:236], s[22:23], -v[170:171]
	v_add_f64 v[64:65], v[66:67], v[64:65]
	v_fma_f64 v[66:67], v[152:153], s[10:11], v[108:109]
	v_add_f64 v[60:61], v[62:63], v[60:61]
	v_fma_f64 v[62:63], v[152:153], s[40:41], v[108:109]
	;; [unrolled: 2-line block ×11, first 2 shown]
	v_add_f64 v[60:61], v[62:63], v[60:61]
	v_fma_f64 v[62:63], v[102:103], s[30:31], -v[124:125]
	v_fma_f64 v[124:125], v[102:103], s[18:19], v[120:121]
	v_add_f64 v[66:67], v[12:13], v[66:67]
	v_add_f64 v[62:63], v[12:13], v[62:63]
	;; [unrolled: 1-line block ×4, first 2 shown]
	v_mul_f64 v[128:129], v[162:163], s[40:41]
	v_add_f64 v[62:63], v[76:77], v[62:63]
	v_fma_f64 v[130:131], v[134:135], s[6:7], v[128:129]
	v_fma_f64 v[76:77], v[134:135], s[6:7], -v[128:129]
	v_add_f64 v[66:67], v[130:131], v[66:67]
	v_mul_f64 v[130:131], v[182:183], s[20:21]
	v_add_f64 v[62:63], v[76:77], v[62:63]
	v_fma_f64 v[132:133], v[156:157], s[8:9], v[130:131]
	v_fma_f64 v[76:77], v[156:157], s[8:9], -v[130:131]
	v_add_f64 v[66:67], v[132:133], v[66:67]
	v_mul_f64 v[132:133], v[203:204], s[38:39]
	v_add_f64 v[62:63], v[76:77], v[62:63]
	v_fma_f64 v[140:141], v[176:177], s[24:25], v[132:133]
	v_fma_f64 v[76:77], v[176:177], s[24:25], -v[132:133]
	v_mul_f64 v[132:133], v[138:139], s[8:9]
	v_add_f64 v[66:67], v[140:141], v[66:67]
	v_mul_f64 v[140:141], v[233:234], s[58:59]
	v_add_f64 v[62:63], v[76:77], v[62:63]
	v_fma_f64 v[144:145], v[199:200], s[18:19], v[140:141]
	v_fma_f64 v[76:77], v[199:200], s[18:19], -v[140:141]
	v_mul_f64 v[140:141], v[156:157], s[18:19]
	v_add_f64 v[66:67], v[144:145], v[66:67]
	v_mul_f64 v[144:145], v[249:250], s[16:17]
	v_add_f64 v[62:63], v[76:77], v[62:63]
	v_fma_f64 v[76:77], v[219:220], s[4:5], -v[144:145]
	v_fma_f64 v[166:167], v[219:220], s[4:5], v[144:145]
	v_mul_f64 v[144:145], v[156:157], s[24:25]
	v_add_f64 v[76:77], v[76:77], v[62:63]
	v_fma_f64 v[62:63], v[96:97], s[28:29], v[168:169]
	v_add_f64 v[166:167], v[166:167], v[66:67]
	v_fma_f64 v[66:67], v[96:97], s[56:57], v[168:169]
	v_mul_f64 v[168:169], v[199:200], s[4:5]
	v_add_f64 v[28:29], v[144:145], -v[160:161]
	v_add_f64 v[62:63], v[62:63], v[60:61]
	v_add_f64 v[60:61], v[78:79], v[76:77]
	v_mul_f64 v[76:77], v[118:119], s[24:25]
	v_add_f64 v[66:67], v[66:67], v[64:65]
	v_fma_f64 v[64:65], v[235:236], s[22:23], v[170:171]
	v_mul_f64 v[170:171], v[219:220], s[8:9]
	v_fma_f64 v[78:79], v[136:137], s[34:35], v[76:77]
	v_fma_f64 v[76:77], v[136:137], s[38:39], v[76:77]
	v_add_f64 v[64:65], v[64:65], v[166:167]
	v_mul_f64 v[166:167], v[201:202], s[30:31]
	v_mul_f64 v[136:137], v[134:135], s[22:23]
	v_add_f64 v[58:59], v[78:79], v[58:59]
	v_mul_f64 v[78:79], v[138:139], s[30:31]
	v_add_f64 v[56:57], v[76:77], v[56:57]
	;; [unrolled: 2-line block ×3, first 2 shown]
	v_fma_f64 v[108:109], v[152:153], s[46:47], v[78:79]
	v_fma_f64 v[78:79], v[152:153], s[42:43], v[78:79]
	v_mul_f64 v[152:153], v[158:159], s[24:25]
	v_add_f64 v[58:59], v[108:109], v[58:59]
	v_mul_f64 v[108:109], v[158:159], s[4:5]
	v_add_f64 v[56:57], v[78:79], v[56:57]
	;; [unrolled: 2-line block ×3, first 2 shown]
	v_mul_f64 v[152:153], v[219:220], s[36:37]
	v_fma_f64 v[110:111], v[172:173], s[16:17], v[108:109]
	v_fma_f64 v[108:109], v[172:173], s[54:55], v[108:109]
	v_mul_f64 v[172:173], v[221:222], s[8:9]
	v_add_f64 v[58:59], v[110:111], v[58:59]
	v_mul_f64 v[110:111], v[178:179], s[8:9]
	v_add_f64 v[56:57], v[108:109], v[56:57]
	v_mul_f64 v[108:109], v[239:240], s[6:7]
	v_fma_f64 v[112:113], v[195:196], s[52:53], v[110:111]
	v_fma_f64 v[110:111], v[195:196], s[20:21], v[110:111]
	v_add_f64 v[58:59], v[112:113], v[58:59]
	v_mul_f64 v[112:113], v[201:202], s[36:37]
	v_add_f64 v[56:57], v[110:111], v[56:57]
	v_fma_f64 v[110:111], v[102:103], s[18:19], -v[120:121]
	buffer_load_dword v120, off, s[60:63], 0 offset:168 ; 4-byte Folded Reload
	buffer_load_dword v121, off, s[60:63], 0 offset:172 ; 4-byte Folded Reload
	v_fma_f64 v[114:115], v[217:218], s[48:49], v[112:113]
	v_fma_f64 v[112:113], v[217:218], s[50:51], v[112:113]
	v_add_f64 v[110:111], v[12:13], v[110:111]
	v_add_f64 v[58:59], v[114:115], v[58:59]
	v_mul_f64 v[114:115], v[221:222], s[22:23]
	v_add_f64 v[56:57], v[112:113], v[56:57]
	v_mul_f64 v[112:113], v[102:103], s[4:5]
	v_fma_f64 v[122:123], v[241:242], s[28:29], v[114:115]
	v_add_f64 v[58:59], v[122:123], v[58:59]
	v_mul_f64 v[122:123], v[142:143], s[38:39]
	v_mul_f64 v[142:143], v[158:159], s[18:19]
	v_fma_f64 v[126:127], v[116:117], s[24:25], v[122:123]
	v_add_f64 v[30:31], v[150:151], v[142:143]
	v_add_f64 v[124:125], v[126:127], v[124:125]
	v_mul_f64 v[126:127], v[162:163], s[42:43]
	v_mul_f64 v[162:163], v[176:177], s[6:7]
	v_fma_f64 v[128:129], v[134:135], s[30:31], v[126:127]
	v_add_f64 v[162:163], v[162:163], -v[197:198]
	v_mul_f64 v[197:198], v[235:236], s[36:37]
	v_add_f64 v[124:125], v[128:129], v[124:125]
	v_mul_f64 v[128:129], v[182:183], s[54:55]
	v_mul_f64 v[182:183], v[239:240], s[4:5]
	v_fma_f64 v[130:131], v[156:157], s[4:5], v[128:129]
	v_add_f64 v[124:125], v[130:131], v[124:125]
	v_fma_f64 v[130:131], v[176:177], s[8:9], v[106:107]
	v_fma_f64 v[106:107], v[176:177], s[8:9], -v[106:107]
	v_add_f64 v[124:125], v[130:131], v[124:125]
	v_fma_f64 v[130:131], v[199:200], s[36:37], v[76:77]
	v_fma_f64 v[76:77], v[199:200], s[36:37], -v[76:77]
	;; [unrolled: 3-line block ×3, first 2 shown]
	v_add_f64 v[124:125], v[130:131], v[124:125]
	v_fma_f64 v[130:131], v[96:97], s[10:11], v[108:109]
	v_fma_f64 v[96:97], v[96:97], s[40:41], v[108:109]
	;; [unrolled: 1-line block ×3, first 2 shown]
	v_fma_f64 v[114:115], v[116:117], s[24:25], -v[122:123]
	v_mul_f64 v[122:123], v[138:139], s[24:25]
	v_mul_f64 v[138:139], v[138:139], s[22:23]
	v_add_f64 v[108:109], v[108:109], v[56:57]
	v_add_f64 v[110:111], v[114:115], v[110:111]
	v_fma_f64 v[114:115], v[134:135], s[30:31], -v[126:127]
	v_add_f64 v[0:1], v[0:1], v[122:123]
	v_mul_f64 v[56:57], v[221:222], s[18:19]
	v_mul_f64 v[122:123], v[201:202], s[4:5]
	v_add_f64 v[138:139], v[146:147], v[138:139]
	v_mul_f64 v[146:147], v[199:200], s[22:23]
	v_add_f64 v[110:111], v[114:115], v[110:111]
	v_fma_f64 v[114:115], v[156:157], s[4:5], -v[128:129]
	v_add_f64 v[126:127], v[245:246], v[56:57]
	v_add_f64 v[56:57], v[231:232], v[122:123]
	v_mul_f64 v[122:123], v[116:117], s[18:19]
	v_mul_f64 v[128:129], v[118:119], s[6:7]
	v_add_f64 v[110:111], v[114:115], v[110:111]
	v_mul_f64 v[114:115], v[104:105], s[8:9]
	v_add_f64 v[106:107], v[106:107], v[110:111]
	s_waitcnt vmcnt(0)
	v_add_f64 v[114:115], v[120:121], v[114:115]
	v_mul_f64 v[120:121], v[118:119], s[22:23]
	v_mul_f64 v[110:111], v[158:159], s[30:31]
	;; [unrolled: 1-line block ×4, first 2 shown]
	v_add_f64 v[76:77], v[76:77], v[106:107]
	v_mul_f64 v[106:107], v[102:103], s[6:7]
	v_add_f64 v[120:121], v[9:10], v[120:121]
	buffer_load_dword v9, off, s[60:63], 0 offset:152 ; 4-byte Folded Reload
	buffer_load_dword v10, off, s[60:63], 0 offset:156 ; 4-byte Folded Reload
	v_mul_f64 v[102:103], v[102:103], s[8:9]
	v_add_f64 v[114:115], v[14:15], v[114:115]
	v_add_f64 v[110:111], v[185:186], v[110:111]
	;; [unrolled: 1-line block ×4, first 2 shown]
	v_mul_f64 v[78:79], v[156:157], s[30:31]
	v_mul_f64 v[156:157], v[178:179], s[30:31]
	v_mul_f64 v[185:186], v[239:240], s[36:37]
	v_add_f64 v[114:115], v[120:121], v[114:115]
	v_mul_f64 v[120:121], v[178:179], s[6:7]
	v_mul_f64 v[178:179], v[235:236], s[24:25]
	v_add_f64 v[78:79], v[78:79], -v[180:181]
	v_mul_f64 v[180:181], v[239:240], s[24:25]
	v_add_f64 v[0:1], v[0:1], v[114:115]
	v_mul_f64 v[114:115], v[104:105], s[4:5]
	v_mul_f64 v[104:105], v[104:105], s[6:7]
	v_add_f64 v[120:121], v[205:206], v[120:121]
	v_add_f64 v[0:1], v[110:111], v[0:1]
	v_mul_f64 v[110:111], v[116:117], s[6:7]
	v_mul_f64 v[116:117], v[116:117], s[22:23]
	v_add_f64 v[0:1], v[120:121], v[0:1]
	v_mul_f64 v[120:121], v[134:135], s[8:9]
	v_mul_f64 v[134:135], v[134:135], s[24:25]
	v_add_f64 v[0:1], v[56:57], v[0:1]
	v_add_f64 v[56:57], v[130:131], v[58:59]
	v_add_f64 v[134:135], v[134:135], -v[154:155]
	v_mul_f64 v[154:155], v[176:177], s[30:31]
	v_add_f64 v[58:59], v[251:252], v[185:186]
	v_add_f64 v[0:1], v[126:127], v[0:1]
	v_add_f64 v[126:127], v[197:198], -v[148:149]
	s_waitcnt vmcnt(0)
	v_add_f64 v[102:103], v[102:103], -v[9:10]
	buffer_load_dword v9, off, s[60:63], 0 offset:192 ; 4-byte Folded Reload
	buffer_load_dword v10, off, s[60:63], 0 offset:196 ; 4-byte Folded Reload
	v_add_f64 v[102:103], v[12:13], v[102:103]
	s_waitcnt vmcnt(0)
	v_add_f64 v[116:117], v[116:117], -v[9:10]
	buffer_load_dword v9, off, s[60:63], 0 offset:136 ; 4-byte Folded Reload
	buffer_load_dword v10, off, s[60:63], 0 offset:140 ; 4-byte Folded Reload
	v_add_f64 v[102:103], v[116:117], v[102:103]
	v_mul_f64 v[116:117], v[176:177], s[36:37]
	v_mul_f64 v[176:177], v[219:220], s[18:19]
	v_add_f64 v[102:103], v[134:135], v[102:103]
	v_mul_f64 v[134:135], v[199:200], s[30:31]
	v_add_f64 v[16:17], v[176:177], -v[227:228]
	v_add_f64 v[102:103], v[78:79], v[102:103]
	v_mul_f64 v[78:79], v[243:244], s[40:41]
	v_add_f64 v[102:103], v[162:163], v[102:103]
	v_fma_f64 v[187:188], v[235:236], s[6:7], v[78:79]
	v_fma_f64 v[195:196], v[235:236], s[6:7], -v[78:79]
	v_add_f64 v[78:79], v[96:97], v[108:109]
	v_add_f64 v[96:97], v[168:169], -v[213:214]
	v_add_f64 v[108:109], v[225:226], v[172:173]
	v_add_f64 v[76:77], v[195:196], v[76:77]
	;; [unrolled: 1-line block ×4, first 2 shown]
	s_waitcnt vmcnt(0)
	v_add_f64 v[104:105], v[9:10], v[104:105]
	buffer_load_dword v9, off, s[60:63], 0 offset:160 ; 4-byte Folded Reload
	buffer_load_dword v10, off, s[60:63], 0 offset:164 ; 4-byte Folded Reload
	v_add_f64 v[104:105], v[14:15], v[104:105]
	s_waitcnt vmcnt(0)
	v_add_f64 v[118:119], v[9:10], v[118:119]
	v_add_f64 v[104:105], v[118:119], v[104:105]
	v_mul_f64 v[118:119], v[201:202], s[22:23]
	v_add_f64 v[104:105], v[138:139], v[104:105]
	v_mul_f64 v[138:139], v[221:222], s[36:37]
	;; [unrolled: 2-line block ×3, first 2 shown]
	v_add_f64 v[2:3], v[158:159], v[2:3]
	v_add_f64 v[32:33], v[104:105], -v[237:238]
	v_add_f64 v[2:3], v[166:167], v[2:3]
	v_mov_b32_e32 v166, v8
	buffer_load_dword v8, off, s[60:63], 0 offset:64 ; 4-byte Folded Reload
	buffer_load_dword v9, off, s[60:63], 0 offset:68 ; 4-byte Folded Reload
	v_mov_b32_e32 v167, v11
	v_add_f64 v[2:3], v[108:109], v[2:3]
	s_waitcnt vmcnt(0)
	v_add_f64 v[102:103], v[8:9], v[114:115]
	buffer_load_dword v8, off, s[60:63], 0 offset:48 ; 4-byte Folded Reload
	buffer_load_dword v9, off, s[60:63], 0 offset:52 ; 4-byte Folded Reload
	v_add_f64 v[14:15], v[14:15], v[102:103]
	s_waitcnt vmcnt(0)
	v_add_f64 v[20:21], v[112:113], -v[8:9]
	buffer_load_dword v8, off, s[60:63], 0 offset:56 ; 4-byte Folded Reload
	buffer_load_dword v9, off, s[60:63], 0 offset:60 ; 4-byte Folded Reload
	v_add_f64 v[20:21], v[12:13], v[20:21]
	s_waitcnt vmcnt(0)
	v_add_f64 v[22:23], v[106:107], -v[8:9]
	;; [unrolled: 5-line block ×3, first 2 shown]
	buffer_load_dword v8, off, s[60:63], 0 offset:88 ; 4-byte Folded Reload
	buffer_load_dword v9, off, s[60:63], 0 offset:92 ; 4-byte Folded Reload
	v_add_f64 v[12:13], v[106:107], v[12:13]
	s_waitcnt vmcnt(0)
	v_add_f64 v[108:109], v[8:9], v[128:129]
	buffer_load_dword v8, off, s[60:63], 0 offset:72 ; 4-byte Folded Reload
	buffer_load_dword v9, off, s[60:63], 0 offset:76 ; 4-byte Folded Reload
	v_add_f64 v[14:15], v[108:109], v[14:15]
	s_waitcnt vmcnt(0)
	v_add_f64 v[102:103], v[110:111], -v[8:9]
	buffer_load_dword v8, off, s[60:63], 0 offset:184 ; 4-byte Folded Reload
	buffer_load_dword v9, off, s[60:63], 0 offset:188 ; 4-byte Folded Reload
	v_add_f64 v[20:21], v[102:103], v[20:21]
	s_waitcnt vmcnt(0)
	v_add_f64 v[22:23], v[136:137], -v[8:9]
	buffer_load_dword v8, off, s[60:63], 0 offset:176 ; 4-byte Folded Reload
	buffer_load_dword v9, off, s[60:63], 0 offset:180 ; 4-byte Folded Reload
	v_add_f64 v[12:13], v[22:23], v[12:13]
	v_add_f64 v[22:23], v[116:117], -v[174:175]
	v_add_f64 v[12:13], v[28:29], v[12:13]
	v_add_f64 v[28:29], v[191:192], v[118:119]
	;; [unrolled: 1-line block ×3, first 2 shown]
	v_add_f64 v[22:23], v[170:171], -v[215:216]
	s_waitcnt vmcnt(0)
	v_add_f64 v[24:25], v[8:9], v[132:133]
	buffer_load_dword v8, off, s[60:63], 0 offset:104 ; 4-byte Folded Reload
	buffer_load_dword v9, off, s[60:63], 0 offset:108 ; 4-byte Folded Reload
	;; [unrolled: 1-line block ×6, first 2 shown]
	v_add_f64 v[14:15], v[24:25], v[14:15]
	v_add_f64 v[24:25], v[140:141], -v[98:99]
	v_add_f64 v[14:15], v[30:31], v[14:15]
	v_add_f64 v[30:31], v[154:155], -v[100:101]
	s_waitcnt vmcnt(4)
	v_add_f64 v[26:27], v[120:121], -v[8:9]
	v_add_f64 v[20:21], v[26:27], v[20:21]
	v_add_f64 v[26:27], v[164:165], v[156:157]
	v_add_f64 v[20:21], v[24:25], v[20:21]
	v_add_f64 v[14:15], v[26:27], v[14:15]
	v_add_f64 v[26:27], v[146:147], -v[189:190]
	v_add_f64 v[24:25], v[134:135], -v[193:194]
	v_add_f64 v[20:21], v[30:31], v[20:21]
	v_add_f64 v[30:31], v[211:212], v[138:139]
	;; [unrolled: 1-line block ×3, first 2 shown]
	v_add_f64 v[28:29], v[152:153], -v[207:208]
	v_add_f64 v[12:13], v[24:25], v[12:13]
	v_add_f64 v[24:25], v[229:230], v[180:181]
	;; [unrolled: 1-line block ×4, first 2 shown]
	v_add_f64 v[30:31], v[178:179], -v[223:224]
	v_add_f64 v[12:13], v[22:23], v[12:13]
	v_add_f64 v[14:15], v[58:59], v[0:1]
	v_mul_lo_u16_e32 v0, 17, v184
	v_add_lshl_u32 v0, v255, v0, 4
	v_add_f64 v[20:21], v[28:29], v[20:21]
	v_add_f64 v[28:29], v[16:17], v[18:19]
	;; [unrolled: 1-line block ×10, first 2 shown]
	ds_write_b128 v0, v[24:27]
	ds_write_b128 v0, v[20:23] offset:16
	ds_write_b128 v0, v[16:19] offset:32
	;; [unrolled: 1-line block ×13, first 2 shown]
	buffer_load_dword v1, off, s[60:63], 0 offset:16 ; 4-byte Folded Reload
	buffer_load_dword v2, off, s[60:63], 0 offset:20 ; 4-byte Folded Reload
	;; [unrolled: 1-line block ×4, first 2 shown]
	s_waitcnt vmcnt(0)
	ds_write_b128 v0, v[1:4] offset:224
	buffer_load_dword v1, off, s[60:63], 0  ; 4-byte Folded Reload
	buffer_load_dword v2, off, s[60:63], 0 offset:4 ; 4-byte Folded Reload
	buffer_load_dword v3, off, s[60:63], 0 offset:8 ; 4-byte Folded Reload
	;; [unrolled: 1-line block ×3, first 2 shown]
	s_waitcnt vmcnt(0)
	ds_write_b128 v0, v[1:4] offset:240
	ds_write_b128 v0, v[168:171] offset:256
.LBB0_7:
	s_or_b64 exec, exec, s[44:45]
	s_load_dwordx4 s[4:7], s[0:1], 0x0
	s_movk_i32 s0, 0xffef
	v_add_co_u32_e64 v0, s[0:1], s0, v184
	v_addc_co_u32_e64 v1, s[0:1], 0, -1, s[0:1]
	v_cmp_gt_u16_e64 s[0:1], 17, v184
	v_cndmask_b32_e64 v1, v1, 0, s[0:1]
	v_cndmask_b32_e64 v0, v0, v184, s[0:1]
	v_lshlrev_b64 v[1:2], 4, v[0:1]
	v_mov_b32_e32 v3, s3
	v_add_co_u32_e64 v1, s[0:1], s2, v1
	v_addc_co_u32_e64 v2, s[0:1], v3, v2, s[0:1]
	v_add_u16_e32 v3, 34, v184
	s_movk_i32 s0, 0xf1
	v_mul_lo_u16_sdwa v4, v3, s0 dst_sel:DWORD dst_unused:UNUSED_PAD src0_sel:BYTE_0 src1_sel:DWORD
	v_lshrrev_b16_e32 v7, 12, v4
	v_mul_lo_u16_e32 v4, 17, v7
	v_sub_u16_e32 v8, v3, v4
	v_mov_b32_e32 v3, 4
	s_waitcnt lgkmcnt(0)
	s_barrier
	v_lshlrev_b32_sdwa v4, v3, v8 dst_sel:DWORD dst_unused:UNUSED_PAD src0_sel:DWORD src1_sel:BYTE_0
	global_load_dwordx4 v[28:31], v[1:2], off
	global_load_dwordx4 v[24:27], v4, s[2:3]
	v_add_u16_e32 v1, 0x44, v184
	v_mul_lo_u16_sdwa v2, v1, s0 dst_sel:DWORD dst_unused:UNUSED_PAD src0_sel:BYTE_0 src1_sel:DWORD
	v_lshrrev_b16_e32 v9, 12, v2
	v_mul_lo_u16_e32 v2, 17, v9
	v_sub_u16_e32 v10, v1, v2
	v_add_u16_e32 v2, 0x66, v184
	v_mul_lo_u16_sdwa v4, v2, s0 dst_sel:DWORD dst_unused:UNUSED_PAD src0_sel:BYTE_0 src1_sel:DWORD
	v_lshrrev_b16_e32 v11, 12, v4
	v_mul_lo_u16_e32 v4, 17, v11
	v_lshlrev_b32_sdwa v1, v3, v10 dst_sel:DWORD dst_unused:UNUSED_PAD src0_sel:DWORD src1_sel:BYTE_0
	v_sub_u16_e32 v12, v2, v4
	v_lshlrev_b32_sdwa v2, v3, v12 dst_sel:DWORD dst_unused:UNUSED_PAD src0_sel:DWORD src1_sel:BYTE_0
	global_load_dwordx4 v[40:43], v1, s[2:3]
	global_load_dwordx4 v[32:35], v2, s[2:3]
	v_add_u16_e32 v1, 0x88, v184
	v_mul_lo_u16_sdwa v2, v1, s0 dst_sel:DWORD dst_unused:UNUSED_PAD src0_sel:BYTE_0 src1_sel:DWORD
	v_lshrrev_b16_e32 v13, 12, v2
	v_mul_lo_u16_e32 v2, 17, v13
	v_sub_u16_e32 v14, v1, v2
	v_add_u16_e32 v2, 0xaa, v184
	v_mul_lo_u16_sdwa v4, v2, s0 dst_sel:DWORD dst_unused:UNUSED_PAD src0_sel:BYTE_0 src1_sel:DWORD
	v_lshrrev_b16_e32 v15, 12, v4
	v_mul_lo_u16_e32 v4, 17, v15
	v_lshlrev_b32_sdwa v1, v3, v14 dst_sel:DWORD dst_unused:UNUSED_PAD src0_sel:DWORD src1_sel:BYTE_0
	v_sub_u16_e32 v16, v2, v4
	global_load_dwordx4 v[176:179], v1, s[2:3]
	v_lshlrev_b32_sdwa v1, v3, v16 dst_sel:DWORD dst_unused:UNUSED_PAD src0_sel:DWORD src1_sel:BYTE_0
	global_load_dwordx4 v[180:183], v1, s[2:3]
	v_add_u16_e32 v1, 0xcc, v184
	v_mul_lo_u16_sdwa v2, v1, s0 dst_sel:DWORD dst_unused:UNUSED_PAD src0_sel:BYTE_0 src1_sel:DWORD
	v_lshrrev_b16_e32 v17, 12, v2
	v_mul_lo_u16_e32 v2, 17, v17
	v_sub_u16_e32 v18, v1, v2
	v_lshlrev_b32_sdwa v1, v3, v18 dst_sel:DWORD dst_unused:UNUSED_PAD src0_sel:DWORD src1_sel:BYTE_0
	global_load_dwordx4 v[172:175], v1, s[2:3]
	v_add_lshl_u32 v150, v255, v184, 4
	ds_read_b128 v[20:23], v150 offset:3808
	ds_read_b128 v[44:47], v150
	ds_read_b128 v[48:51], v150 offset:544
	ds_read_b128 v[52:55], v150 offset:4352
	;; [unrolled: 1-line block ×12, first 2 shown]
	v_cmp_lt_u16_e64 s[0:1], 16, v184
	s_waitcnt vmcnt(0) lgkmcnt(0)
	s_barrier
	s_mov_b32 s10, 0xe976ee23
	s_mov_b32 s8, 0x429ad128
	;; [unrolled: 1-line block ×16, first 2 shown]
	v_lshl_add_u32 v253, v184, 4, v167
	v_mul_f64 v[1:2], v[22:23], v[30:31]
	v_mul_f64 v[96:97], v[52:53], v[26:27]
	v_mul_f64 v[3:4], v[20:21], v[30:31]
	v_mul_f64 v[5:6], v[54:55], v[26:27]
	v_fma_f64 v[1:2], v[20:21], v[28:29], -v[1:2]
	v_fma_f64 v[54:55], v[54:55], v[24:25], v[96:97]
	v_fma_f64 v[3:4], v[22:23], v[28:29], v[3:4]
	v_fma_f64 v[5:6], v[52:53], v[24:25], -v[5:6]
	v_mul_f64 v[98:99], v[58:59], v[42:43]
	v_mul_f64 v[100:101], v[56:57], v[42:43]
	;; [unrolled: 1-line block ×4, first 2 shown]
	v_add_f64 v[20:21], v[44:45], -v[1:2]
	v_add_f64 v[22:23], v[46:47], -v[3:4]
	;; [unrolled: 1-line block ×4, first 2 shown]
	v_fma_f64 v[56:57], v[56:57], v[40:41], -v[98:99]
	v_fma_f64 v[58:59], v[58:59], v[40:41], v[100:101]
	v_fma_f64 v[68:69], v[68:69], v[32:33], -v[102:103]
	v_fma_f64 v[70:71], v[70:71], v[32:33], v[104:105]
	v_fma_f64 v[44:45], v[44:45], 2.0, -v[20:21]
	v_mul_f64 v[106:107], v[74:75], v[178:179]
	v_mul_f64 v[108:109], v[72:73], v[178:179]
	;; [unrolled: 1-line block ×4, first 2 shown]
	v_add_f64 v[56:57], v[60:61], -v[56:57]
	v_add_f64 v[58:59], v[62:63], -v[58:59]
	;; [unrolled: 1-line block ×4, first 2 shown]
	v_fma_f64 v[72:73], v[72:73], v[176:177], -v[106:107]
	v_mul_f64 v[96:97], v[94:95], v[174:175]
	v_mul_f64 v[98:99], v[92:93], v[174:175]
	v_fma_f64 v[74:75], v[74:75], v[176:177], v[108:109]
	v_fma_f64 v[88:89], v[88:89], v[180:181], -v[110:111]
	v_fma_f64 v[90:91], v[90:91], v[180:181], v[112:113]
	v_fma_f64 v[46:47], v[46:47], 2.0, -v[22:23]
	v_fma_f64 v[48:49], v[48:49], 2.0, -v[52:53]
	v_add_f64 v[72:73], v[76:77], -v[72:73]
	v_fma_f64 v[1:2], v[92:93], v[172:173], -v[96:97]
	v_fma_f64 v[3:4], v[94:95], v[172:173], v[98:99]
	v_add_f64 v[74:75], v[78:79], -v[74:75]
	v_add_f64 v[88:89], v[80:81], -v[88:89]
	;; [unrolled: 1-line block ×3, first 2 shown]
	v_fma_f64 v[50:51], v[50:51], 2.0, -v[54:55]
	v_fma_f64 v[60:61], v[60:61], 2.0, -v[56:57]
	;; [unrolled: 1-line block ×3, first 2 shown]
	v_add_f64 v[92:93], v[84:85], -v[1:2]
	v_cndmask_b32_e64 v1, 0, 34, s[0:1]
	v_add_u32_e32 v0, v0, v1
	v_add_lshl_u32 v148, v255, v0, 4
	v_mad_legacy_u16 v0, v7, 34, v8
	v_and_b32_e32 v0, 0xff, v0
	v_add_f64 v[94:95], v[86:87], -v[3:4]
	v_add_lshl_u32 v149, v255, v0, 4
	v_mul_u32_u24_e32 v0, 34, v9
	v_add_u32_sdwa v0, v0, v10 dst_sel:DWORD dst_unused:UNUSED_PAD src0_sel:DWORD src1_sel:BYTE_0
	v_add_lshl_u32 v165, v255, v0, 4
	v_mul_u32_u24_e32 v0, 34, v11
	v_add_u32_sdwa v0, v0, v12 dst_sel:DWORD dst_unused:UNUSED_PAD src0_sel:DWORD src1_sel:BYTE_0
	v_fma_f64 v[64:65], v[64:65], 2.0, -v[68:69]
	v_fma_f64 v[66:67], v[66:67], 2.0, -v[70:71]
	v_add_lshl_u32 v185, v255, v0, 4
	v_mul_u32_u24_e32 v0, 34, v13
	v_add_u32_sdwa v0, v0, v14 dst_sel:DWORD dst_unused:UNUSED_PAD src0_sel:DWORD src1_sel:BYTE_0
	v_add_lshl_u32 v186, v255, v0, 4
	v_mul_u32_u24_e32 v0, 34, v15
	v_add_u32_sdwa v0, v0, v16 dst_sel:DWORD dst_unused:UNUSED_PAD src0_sel:DWORD src1_sel:BYTE_0
	v_fma_f64 v[76:77], v[76:77], 2.0, -v[72:73]
	v_fma_f64 v[78:79], v[78:79], 2.0, -v[74:75]
	;; [unrolled: 1-line block ×6, first 2 shown]
	v_add_lshl_u32 v187, v255, v0, 4
	v_mul_u32_u24_e32 v0, 34, v17
	v_add_u32_sdwa v0, v0, v18 dst_sel:DWORD dst_unused:UNUSED_PAD src0_sel:DWORD src1_sel:BYTE_0
	v_add_lshl_u32 v188, v255, v0, 4
	v_mov_b32_e32 v0, s2
	s_movk_i32 s0, 0x60
	v_mov_b32_e32 v1, s3
	ds_write_b128 v148, v[44:47]
	ds_write_b128 v148, v[20:23] offset:272
	ds_write_b128 v149, v[48:51]
	ds_write_b128 v149, v[52:55] offset:272
	;; [unrolled: 2-line block ×4, first 2 shown]
	v_mad_u64_u32 v[64:65], s[0:1], v184, s0, v[0:1]
	ds_write_b128 v186, v[76:79]
	ds_write_b128 v186, v[72:75] offset:272
	ds_write_b128 v187, v[80:83]
	ds_write_b128 v187, v[88:91] offset:272
	;; [unrolled: 2-line block ×3, first 2 shown]
	s_waitcnt lgkmcnt(0)
	s_barrier
	global_load_dwordx4 v[56:59], v[64:65], off offset:272
	global_load_dwordx4 v[52:55], v[64:65], off offset:288
	;; [unrolled: 1-line block ×6, first 2 shown]
	ds_read_b128 v[66:69], v150
	ds_read_b128 v[70:73], v150 offset:544
	ds_read_b128 v[74:77], v150 offset:1088
	ds_read_b128 v[78:81], v150 offset:1632
	ds_read_b128 v[82:85], v150 offset:2176
	ds_read_b128 v[86:89], v150 offset:2720
	ds_read_b128 v[90:93], v150 offset:3264
	ds_read_b128 v[94:97], v150 offset:3808
	ds_read_b128 v[98:101], v150 offset:4352
	ds_read_b128 v[102:105], v150 offset:4896
	ds_read_b128 v[106:109], v150 offset:5440
	ds_read_b128 v[110:113], v150 offset:5984
	ds_read_b128 v[114:117], v150 offset:6528
	ds_read_b128 v[118:121], v150 offset:7072
	s_mov_b32 s2, 0x37e14327
	s_mov_b32 s0, 0x36b3c0b5
	s_mov_b32 s3, 0x3fe948f6
	s_mov_b32 s1, 0x3fac98ee
	s_waitcnt vmcnt(0) lgkmcnt(0)
	s_barrier
	v_mul_f64 v[2:3], v[74:75], v[58:59]
	v_mul_f64 v[6:7], v[82:83], v[54:55]
	;; [unrolled: 1-line block ×8, first 2 shown]
	v_fma_f64 v[2:3], v[76:77], v[56:57], v[2:3]
	v_fma_f64 v[6:7], v[84:85], v[52:53], v[6:7]
	;; [unrolled: 1-line block ×3, first 2 shown]
	v_mul_f64 v[84:85], v[98:99], v[46:47]
	v_mul_f64 v[92:93], v[106:107], v[62:63]
	v_mul_f64 v[124:125], v[114:115], v[22:23]
	v_fma_f64 v[0:1], v[74:75], v[56:57], -v[0:1]
	v_fma_f64 v[4:5], v[82:83], v[52:53], -v[4:5]
	;; [unrolled: 1-line block ×3, first 2 shown]
	v_mul_f64 v[82:83], v[100:101], v[46:47]
	v_mul_f64 v[90:91], v[108:109], v[62:63]
	;; [unrolled: 1-line block ×3, first 2 shown]
	v_fma_f64 v[84:85], v[100:101], v[44:45], v[84:85]
	v_fma_f64 v[92:93], v[108:109], v[60:61], v[92:93]
	;; [unrolled: 1-line block ×4, first 2 shown]
	v_mul_f64 v[80:81], v[86:87], v[54:55]
	v_fma_f64 v[82:83], v[98:99], v[44:45], -v[82:83]
	v_fma_f64 v[90:91], v[106:107], v[60:61], -v[90:91]
	;; [unrolled: 1-line block ×4, first 2 shown]
	v_mul_f64 v[78:79], v[88:89], v[54:55]
	v_mul_f64 v[114:115], v[96:97], v[50:51]
	;; [unrolled: 1-line block ×3, first 2 shown]
	v_fma_f64 v[132:133], v[88:89], v[52:53], v[80:81]
	v_add_f64 v[88:89], v[2:3], v[100:101]
	v_add_f64 v[2:3], v[2:3], -v[100:101]
	v_add_f64 v[100:101], v[6:7], v[92:93]
	v_mul_f64 v[122:123], v[104:105], v[46:47]
	v_fma_f64 v[130:131], v[86:87], v[52:53], -v[78:79]
	v_add_f64 v[86:87], v[0:1], v[98:99]
	v_add_f64 v[0:1], v[0:1], -v[98:99]
	v_add_f64 v[98:99], v[4:5], v[90:91]
	v_mul_f64 v[126:127], v[112:113], v[62:63]
	v_add_f64 v[4:5], v[4:5], -v[90:91]
	v_add_f64 v[6:7], v[6:7], -v[92:93]
	v_add_f64 v[90:91], v[74:75], v[82:83]
	v_add_f64 v[92:93], v[76:77], v[84:85]
	v_add_f64 v[74:75], v[82:83], -v[74:75]
	v_add_f64 v[76:77], v[84:85], -v[76:77]
	v_add_f64 v[84:85], v[100:101], v[88:89]
	v_mul_f64 v[124:125], v[102:103], v[46:47]
	v_mul_f64 v[128:129], v[110:111], v[62:63]
	v_add_f64 v[82:83], v[98:99], v[86:87]
	v_fma_f64 v[94:95], v[94:95], v[48:49], -v[114:115]
	v_fma_f64 v[96:97], v[96:97], v[48:49], v[116:117]
	v_fma_f64 v[102:103], v[102:103], v[44:45], -v[122:123]
	v_fma_f64 v[110:111], v[110:111], v[60:61], -v[126:127]
	v_add_f64 v[114:115], v[98:99], -v[86:87]
	v_add_f64 v[116:117], v[100:101], -v[88:89]
	;; [unrolled: 1-line block ×5, first 2 shown]
	v_add_f64 v[122:123], v[74:75], v[4:5]
	v_add_f64 v[126:127], v[74:75], -v[4:5]
	v_add_f64 v[84:85], v[92:93], v[84:85]
	v_add_f64 v[4:5], v[4:5], -v[0:1]
	v_fma_f64 v[104:105], v[104:105], v[44:45], v[124:125]
	v_fma_f64 v[112:113], v[112:113], v[60:61], v[128:129]
	v_add_f64 v[88:89], v[88:89], -v[92:93]
	v_add_f64 v[124:125], v[76:77], v[6:7]
	v_add_f64 v[128:129], v[76:77], -v[6:7]
	v_add_f64 v[82:83], v[90:91], v[82:83]
	v_add_f64 v[6:7], v[6:7], -v[2:3]
	v_add_f64 v[74:75], v[0:1], -v[74:75]
	v_add_f64 v[0:1], v[122:123], v[0:1]
	v_add_f64 v[68:69], v[68:69], v[84:85]
	v_mul_f64 v[86:87], v[86:87], s[2:3]
	v_mul_f64 v[90:91], v[98:99], s[0:1]
	;; [unrolled: 1-line block ×5, first 2 shown]
	v_add_f64 v[76:77], v[2:3], -v[76:77]
	v_add_f64 v[2:3], v[124:125], v[2:3]
	v_add_f64 v[66:67], v[66:67], v[82:83]
	v_mul_f64 v[88:89], v[88:89], s[2:3]
	v_mul_f64 v[124:125], v[128:129], s[10:11]
	;; [unrolled: 1-line block ×4, first 2 shown]
	v_fma_f64 v[84:85], v[84:85], s[16:17], v[68:69]
	v_fma_f64 v[98:99], v[98:99], s[0:1], v[86:87]
	v_fma_f64 v[90:91], v[114:115], s[18:19], -v[90:91]
	v_fma_f64 v[92:93], v[116:117], s[18:19], -v[92:93]
	;; [unrolled: 1-line block ×3, first 2 shown]
	v_fma_f64 v[114:115], v[74:75], s[22:23], v[122:123]
	v_fma_f64 v[4:5], v[4:5], s[8:9], -v[122:123]
	v_fma_f64 v[74:75], v[74:75], s[26:27], -v[126:127]
	v_mul_f64 v[80:81], v[118:119], v[22:23]
	v_fma_f64 v[82:83], v[82:83], s[16:17], v[66:67]
	v_fma_f64 v[100:101], v[100:101], s[0:1], v[88:89]
	v_fma_f64 v[88:89], v[116:117], s[20:21], -v[88:89]
	v_fma_f64 v[116:117], v[76:77], s[22:23], v[124:125]
	v_fma_f64 v[6:7], v[6:7], s[8:9], -v[124:125]
	v_fma_f64 v[76:77], v[76:77], s[26:27], -v[128:129]
	v_add_f64 v[92:93], v[92:93], v[84:85]
	v_fma_f64 v[114:115], v[0:1], s[24:25], v[114:115]
	v_fma_f64 v[128:129], v[0:1], s[24:25], v[74:75]
	;; [unrolled: 1-line block ×3, first 2 shown]
	v_fma_f64 v[4:5], v[118:119], v[20:21], -v[78:79]
	v_add_f64 v[90:91], v[90:91], v[82:83]
	v_fma_f64 v[116:117], v[2:3], s[24:25], v[116:117]
	v_fma_f64 v[126:127], v[2:3], s[24:25], v[76:77]
	;; [unrolled: 1-line block ×4, first 2 shown]
	v_add_f64 v[100:101], v[100:101], v[84:85]
	v_add_f64 v[124:125], v[88:89], v[84:85]
	;; [unrolled: 1-line block ×3, first 2 shown]
	v_add_f64 v[88:89], v[92:93], -v[0:1]
	v_add_f64 v[0:1], v[106:107], v[4:5]
	v_add_f64 v[4:5], v[106:107], -v[4:5]
	v_add_f64 v[106:107], v[130:131], v[110:111]
	v_add_f64 v[98:99], v[98:99], v[82:83]
	;; [unrolled: 1-line block ×3, first 2 shown]
	v_add_f64 v[82:83], v[90:91], -v[2:3]
	v_add_f64 v[86:87], v[2:3], v[90:91]
	v_add_f64 v[2:3], v[108:109], v[6:7]
	v_add_f64 v[6:7], v[108:109], -v[6:7]
	v_add_f64 v[108:109], v[132:133], v[112:113]
	v_add_f64 v[112:113], v[132:133], -v[112:113]
	v_add_f64 v[118:119], v[94:95], v[102:103]
	v_add_f64 v[120:121], v[96:97], v[104:105]
	v_add_f64 v[94:95], v[102:103], -v[94:95]
	v_add_f64 v[96:97], v[104:105], -v[96:97]
	v_add_f64 v[102:103], v[106:107], v[0:1]
	v_add_f64 v[110:111], v[130:131], -v[110:111]
	v_add_f64 v[104:105], v[108:109], v[2:3]
	v_add_f64 v[78:79], v[126:127], v[122:123]
	v_add_f64 v[80:81], v[124:125], -v[128:129]
	v_add_f64 v[90:91], v[122:123], -v[126:127]
	v_add_f64 v[92:93], v[128:129], v[124:125]
	v_add_f64 v[122:123], v[106:107], -v[0:1]
	v_add_f64 v[124:125], v[108:109], -v[2:3]
	;; [unrolled: 1-line block ×5, first 2 shown]
	v_add_f64 v[128:129], v[96:97], v[112:113]
	v_add_f64 v[132:133], v[96:97], -v[112:113]
	v_add_f64 v[102:103], v[118:119], v[102:103]
	v_add_f64 v[112:113], v[112:113], -v[6:7]
	v_add_f64 v[106:107], v[118:119], -v[106:107]
	v_add_f64 v[126:127], v[94:95], v[110:111]
	v_add_f64 v[130:131], v[94:95], -v[110:111]
	v_add_f64 v[104:105], v[120:121], v[104:105]
	v_add_f64 v[110:111], v[110:111], -v[4:5]
	v_add_f64 v[96:97], v[6:7], -v[96:97]
	v_add_f64 v[6:7], v[128:129], v[6:7]
	v_add_f64 v[70:71], v[70:71], v[102:103]
	v_mul_f64 v[0:1], v[0:1], s[2:3]
	v_mul_f64 v[2:3], v[2:3], s[2:3]
	;; [unrolled: 1-line block ×5, first 2 shown]
	v_add_f64 v[94:95], v[4:5], -v[94:95]
	v_add_f64 v[4:5], v[126:127], v[4:5]
	v_add_f64 v[72:73], v[72:73], v[104:105]
	v_mul_f64 v[118:119], v[106:107], s[0:1]
	v_mul_f64 v[126:127], v[130:131], s[10:11]
	;; [unrolled: 1-line block ×3, first 2 shown]
	v_fma_f64 v[102:103], v[102:103], s[16:17], v[70:71]
	v_fma_f64 v[106:107], v[106:107], s[0:1], v[0:1]
	;; [unrolled: 1-line block ×3, first 2 shown]
	v_fma_f64 v[120:121], v[124:125], s[18:19], -v[120:121]
	v_fma_f64 v[0:1], v[122:123], s[20:21], -v[0:1]
	;; [unrolled: 1-line block ×3, first 2 shown]
	v_fma_f64 v[124:125], v[96:97], s[22:23], v[128:129]
	v_fma_f64 v[96:97], v[96:97], s[26:27], -v[132:133]
	v_fma_f64 v[104:105], v[104:105], s[16:17], v[72:73]
	v_fma_f64 v[118:119], v[122:123], s[18:19], -v[118:119]
	;; [unrolled: 2-line block ×3, first 2 shown]
	v_fma_f64 v[112:113], v[112:113], s[8:9], -v[128:129]
	v_fma_f64 v[94:95], v[94:95], s[26:27], -v[130:131]
	v_add_f64 v[0:1], v[0:1], v[102:103]
	v_fma_f64 v[130:131], v[6:7], s[24:25], v[96:97]
	v_add_f64 v[126:127], v[106:107], v[102:103]
	v_add_f64 v[128:129], v[108:109], v[104:105]
	;; [unrolled: 1-line block ×5, first 2 shown]
	v_fma_f64 v[124:125], v[6:7], s[24:25], v[124:125]
	v_fma_f64 v[122:123], v[4:5], s[24:25], v[122:123]
	;; [unrolled: 1-line block ×5, first 2 shown]
	v_add_f64 v[74:75], v[116:117], v[98:99]
	v_add_f64 v[76:77], v[100:101], -v[114:115]
	v_add_f64 v[96:97], v[114:115], v[100:101]
	v_add_f64 v[102:103], v[130:131], v[0:1]
	v_add_f64 v[114:115], v[0:1], -v[130:131]
	v_mul_i32_i24_e32 v0, 0xffffffb0, v184
	v_add_f64 v[94:95], v[98:99], -v[116:117]
	v_mul_hi_i32_i24_e32 v1, 0xffffffb0, v184
	v_add_co_u32_e64 v0, s[0:1], v64, v0
	v_addc_co_u32_e64 v1, s[0:1], v65, v1, s[0:1]
	v_add_f64 v[98:99], v[124:125], v[126:127]
	v_add_f64 v[100:101], v[128:129], -v[122:123]
	v_add_f64 v[104:105], v[2:3], -v[132:133]
	;; [unrolled: 1-line block ×3, first 2 shown]
	v_add_f64 v[108:109], v[4:5], v[120:121]
	v_add_f64 v[110:111], v[6:7], v[118:119]
	v_add_f64 v[112:113], v[120:121], -v[4:5]
	v_add_f64 v[116:117], v[132:133], v[2:3]
	v_add_f64 v[118:119], v[126:127], -v[124:125]
	v_add_f64 v[120:121], v[122:123], v[128:129]
	ds_write_b128 v150, v[66:69]
	ds_write_b128 v150, v[74:77] offset:544
	ds_write_b128 v150, v[78:81] offset:1088
	ds_write_b128 v150, v[82:85] offset:1632
	ds_write_b128 v150, v[86:89] offset:2176
	ds_write_b128 v150, v[90:93] offset:2720
	ds_write_b128 v150, v[94:97] offset:3264
	ds_write_b128 v150, v[70:73] offset:3808
	ds_write_b128 v150, v[98:101] offset:4352
	ds_write_b128 v150, v[102:105] offset:4896
	ds_write_b128 v150, v[106:109] offset:5440
	ds_write_b128 v150, v[110:113] offset:5984
	ds_write_b128 v150, v[114:117] offset:6528
	ds_write_b128 v150, v[118:121] offset:7072
	s_waitcnt lgkmcnt(0)
	s_barrier
	global_load_dwordx4 v[64:67], v[0:1], off offset:3536
	global_load_dwordx4 v[68:71], v[0:1], off offset:4080
	s_movk_i32 s10, 0x1000
	v_add_co_u32_e64 v0, s[0:1], s10, v0
	v_addc_co_u32_e64 v1, s[0:1], 0, v1, s[0:1]
	global_load_dwordx4 v[72:75], v[0:1], off offset:528
	global_load_dwordx4 v[76:79], v[0:1], off offset:1072
	;; [unrolled: 1-line block ×5, first 2 shown]
	ds_read_b128 v[92:95], v150 offset:3808
	ds_read_b128 v[104:107], v150
	ds_read_b128 v[112:115], v150 offset:544
	ds_read_b128 v[96:99], v150 offset:4352
	;; [unrolled: 1-line block ×12, first 2 shown]
	s_waitcnt vmcnt(6) lgkmcnt(13)
	v_mul_f64 v[0:1], v[94:95], v[66:67]
	v_mul_f64 v[2:3], v[92:93], v[66:67]
	s_waitcnt vmcnt(5) lgkmcnt(10)
	v_mul_f64 v[4:5], v[98:99], v[70:71]
	v_mul_f64 v[6:7], v[96:97], v[70:71]
	s_waitcnt vmcnt(2) lgkmcnt(5)
	v_mul_f64 v[151:152], v[122:123], v[86:87]
	v_mul_f64 v[153:154], v[120:121], v[86:87]
	s_waitcnt vmcnt(1) lgkmcnt(1)
	v_mul_f64 v[155:156], v[126:127], v[90:91]
	v_fma_f64 v[0:1], v[92:93], v[64:65], -v[0:1]
	v_fma_f64 v[2:3], v[94:95], v[64:65], v[2:3]
	v_mul_f64 v[92:93], v[102:103], v[74:75]
	v_mul_f64 v[94:95], v[100:101], v[74:75]
	v_fma_f64 v[4:5], v[96:97], v[68:69], -v[4:5]
	v_fma_f64 v[6:7], v[98:99], v[68:69], v[6:7]
	v_mul_f64 v[96:97], v[110:111], v[78:79]
	v_mul_f64 v[98:99], v[108:109], v[78:79]
	;; [unrolled: 1-line block ×3, first 2 shown]
	v_fma_f64 v[120:121], v[120:121], v[84:85], -v[151:152]
	v_fma_f64 v[92:93], v[100:101], v[72:73], -v[92:93]
	v_fma_f64 v[94:95], v[102:103], v[72:73], v[94:95]
	v_fma_f64 v[122:123], v[122:123], v[84:85], v[153:154]
	s_waitcnt vmcnt(0) lgkmcnt(0)
	v_mul_f64 v[151:152], v[142:143], v[82:83]
	v_mul_f64 v[153:154], v[140:141], v[82:83]
	v_fma_f64 v[159:160], v[108:109], v[76:77], -v[96:97]
	v_fma_f64 v[161:162], v[110:111], v[76:77], v[98:99]
	v_fma_f64 v[124:125], v[124:125], v[88:89], -v[155:156]
	v_fma_f64 v[126:127], v[126:127], v[88:89], v[157:158]
	v_add_f64 v[96:97], v[104:105], -v[0:1]
	v_add_f64 v[98:99], v[106:107], -v[2:3]
	;; [unrolled: 1-line block ×6, first 2 shown]
	v_fma_f64 v[0:1], v[140:141], v[80:81], -v[151:152]
	v_fma_f64 v[2:3], v[142:143], v[80:81], v[153:154]
	v_fma_f64 v[92:93], v[104:105], 2.0, -v[96:97]
	v_fma_f64 v[94:95], v[106:107], 2.0, -v[98:99]
	;; [unrolled: 1-line block ×6, first 2 shown]
	v_add_f64 v[116:117], v[128:129], -v[159:160]
	v_add_f64 v[118:119], v[130:131], -v[161:162]
	;; [unrolled: 1-line block ×8, first 2 shown]
	v_fma_f64 v[128:129], v[128:129], 2.0, -v[116:117]
	v_fma_f64 v[130:131], v[130:131], 2.0, -v[118:119]
	;; [unrolled: 1-line block ×8, first 2 shown]
	v_lshlrev_b32_e32 v151, 4, v184
	v_add_u32_e32 v152, v151, v167
	ds_write_b128 v253, v[92:95]
	ds_write_b128 v253, v[96:99] offset:3808
	ds_write_b128 v253, v[104:107] offset:544
	;; [unrolled: 1-line block ×13, first 2 shown]
	s_waitcnt lgkmcnt(0)
	s_barrier
	s_and_saveexec_b64 s[2:3], vcc
	s_cbranch_execz .LBB0_9
; %bb.8:
	s_add_u32 s8, s12, 0x1dc0
	s_addc_u32 s9, s13, 0
	global_load_dwordx4 v[157:160], v254, s[8:9]
	ds_read_b128 v[153:156], v253
	v_add_co_u32_e64 v2, s[0:1], s8, v254
	v_mov_b32_e32 v0, s9
	v_addc_co_u32_e64 v3, s[0:1], 0, v0, s[0:1]
	s_waitcnt vmcnt(0) lgkmcnt(0)
	v_mul_f64 v[0:1], v[155:156], v[159:160]
	v_fma_f64 v[161:162], v[153:154], v[157:158], -v[0:1]
	v_mul_f64 v[0:1], v[153:154], v[159:160]
	v_fma_f64 v[163:164], v[155:156], v[157:158], v[0:1]
	global_load_dwordx4 v[157:160], v254, s[8:9] offset:448
	ds_read_b128 v[153:156], v253 offset:448
	ds_write_b128 v253, v[161:164]
	s_waitcnt vmcnt(0) lgkmcnt(1)
	v_mul_f64 v[0:1], v[155:156], v[159:160]
	v_fma_f64 v[161:162], v[153:154], v[157:158], -v[0:1]
	v_mul_f64 v[0:1], v[153:154], v[159:160]
	v_fma_f64 v[163:164], v[155:156], v[157:158], v[0:1]
	global_load_dwordx4 v[157:160], v254, s[8:9] offset:896
	ds_read_b128 v[153:156], v253 offset:896
	ds_write_b128 v253, v[161:164] offset:448
	s_waitcnt vmcnt(0) lgkmcnt(1)
	v_mul_f64 v[0:1], v[155:156], v[159:160]
	v_fma_f64 v[161:162], v[153:154], v[157:158], -v[0:1]
	v_mul_f64 v[0:1], v[153:154], v[159:160]
	v_fma_f64 v[163:164], v[155:156], v[157:158], v[0:1]
	global_load_dwordx4 v[157:160], v254, s[8:9] offset:1344
	ds_read_b128 v[153:156], v253 offset:1344
	ds_write_b128 v253, v[161:164] offset:896
	;; [unrolled: 8-line block ×8, first 2 shown]
	s_waitcnt vmcnt(0) lgkmcnt(1)
	v_mul_f64 v[0:1], v[155:156], v[159:160]
	v_fma_f64 v[161:162], v[153:154], v[157:158], -v[0:1]
	v_mul_f64 v[0:1], v[153:154], v[159:160]
	v_fma_f64 v[163:164], v[155:156], v[157:158], v[0:1]
	v_add_co_u32_e64 v0, s[0:1], s10, v2
	v_addc_co_u32_e64 v1, s[0:1], 0, v3, s[0:1]
	global_load_dwordx4 v[157:160], v[0:1], off offset:384
	ds_read_b128 v[153:156], v253 offset:4480
	ds_write_b128 v253, v[161:164] offset:4032
	s_waitcnt vmcnt(0) lgkmcnt(1)
	v_mul_f64 v[2:3], v[155:156], v[159:160]
	v_fma_f64 v[161:162], v[153:154], v[157:158], -v[2:3]
	v_mul_f64 v[2:3], v[153:154], v[159:160]
	v_fma_f64 v[163:164], v[155:156], v[157:158], v[2:3]
	global_load_dwordx4 v[157:160], v[0:1], off offset:832
	ds_read_b128 v[153:156], v253 offset:4928
	ds_write_b128 v253, v[161:164] offset:4480
	s_waitcnt vmcnt(0) lgkmcnt(1)
	v_mul_f64 v[2:3], v[155:156], v[159:160]
	v_fma_f64 v[161:162], v[153:154], v[157:158], -v[2:3]
	v_mul_f64 v[2:3], v[153:154], v[159:160]
	v_fma_f64 v[163:164], v[155:156], v[157:158], v[2:3]
	;; [unrolled: 8-line block ×6, first 2 shown]
	v_or_b32_e32 v0, 0x1c00, v254
	global_load_dwordx4 v[157:160], v0, s[8:9]
	ds_read_b128 v[153:156], v253 offset:7168
	ds_write_b128 v253, v[161:164] offset:6720
	s_waitcnt vmcnt(0) lgkmcnt(1)
	v_mul_f64 v[0:1], v[155:156], v[159:160]
	v_fma_f64 v[161:162], v[153:154], v[157:158], -v[0:1]
	v_mul_f64 v[0:1], v[153:154], v[159:160]
	v_fma_f64 v[163:164], v[155:156], v[157:158], v[0:1]
	ds_write_b128 v253, v[161:164] offset:7168
.LBB0_9:
	s_or_b64 exec, exec, s[2:3]
	s_waitcnt lgkmcnt(0)
	s_barrier
	s_and_saveexec_b64 s[0:1], vcc
	s_cbranch_execz .LBB0_11
; %bb.10:
	ds_read_b128 v[92:95], v253
	ds_read_b128 v[96:99], v253 offset:448
	ds_read_b128 v[104:107], v253 offset:896
	;; [unrolled: 1-line block ×14, first 2 shown]
	s_waitcnt lgkmcnt(0)
	buffer_store_dword v0, off, s[60:63], 0 offset:16 ; 4-byte Folded Spill
	s_nop 0
	buffer_store_dword v1, off, s[60:63], 0 offset:20 ; 4-byte Folded Spill
	buffer_store_dword v2, off, s[60:63], 0 offset:24 ; 4-byte Folded Spill
	;; [unrolled: 1-line block ×3, first 2 shown]
	ds_read_b128 v[0:3], v253 offset:6720
	s_waitcnt lgkmcnt(0)
	buffer_store_dword v0, off, s[60:63], 0 ; 4-byte Folded Spill
	s_nop 0
	buffer_store_dword v1, off, s[60:63], 0 offset:4 ; 4-byte Folded Spill
	buffer_store_dword v2, off, s[60:63], 0 offset:8 ; 4-byte Folded Spill
	;; [unrolled: 1-line block ×3, first 2 shown]
	ds_read_b128 v[168:171], v253 offset:7168
.LBB0_11:
	s_or_b64 exec, exec, s[0:1]
	v_add_u32_e32 v156, 0x440, v152
	v_add_u32_e32 v155, 0x660, v152
	;; [unrolled: 1-line block ×5, first 2 shown]
	s_waitcnt vmcnt(0) lgkmcnt(0)
	s_barrier
	s_and_saveexec_b64 s[0:1], vcc
	s_cbranch_execz .LBB0_13
; %bb.12:
	buffer_store_dword v185, off, s[60:63], 0 offset:176 ; 4-byte Folded Spill
	buffer_store_dword v186, off, s[60:63], 0 offset:184 ; 4-byte Folded Spill
	buffer_store_dword v32, off, s[60:63], 0 offset:72 ; 4-byte Folded Spill
	s_nop 0
	buffer_store_dword v33, off, s[60:63], 0 offset:76 ; 4-byte Folded Spill
	buffer_store_dword v34, off, s[60:63], 0 offset:80 ; 4-byte Folded Spill
	;; [unrolled: 1-line block ×3, first 2 shown]
	buffer_load_dword v32, off, s[60:63], 0 ; 4-byte Folded Reload
	s_nop 0
	buffer_load_dword v33, off, s[60:63], 0 offset:4 ; 4-byte Folded Reload
	buffer_load_dword v34, off, s[60:63], 0 offset:8 ; 4-byte Folded Reload
	;; [unrolled: 1-line block ×7, first 2 shown]
	s_nop 0
	buffer_store_dword v151, off, s[60:63], 0 offset:200 ; 4-byte Folded Spill
	buffer_store_dword v152, off, s[60:63], 0 offset:204 ; 4-byte Folded Spill
	;; [unrolled: 1-line block ×7, first 2 shown]
	s_nop 0
	buffer_store_dword v167, off, s[60:63], 0 offset:60 ; 4-byte Folded Spill
	buffer_store_dword v165, off, s[60:63], 0 offset:168 ; 4-byte Folded Spill
	v_add_f64 v[2:3], v[132:133], -v[120:121]
	v_add_f64 v[14:15], v[96:97], -v[168:169]
	s_mov_b32 s50, 0xeb564b22
	s_mov_b32 s16, 0xacd6c6b4
	;; [unrolled: 1-line block ×4, first 2 shown]
	v_add_f64 v[203:204], v[98:99], v[170:171]
	s_mov_b32 s38, 0x5d8e7cdc
	v_mov_b32_e32 v19, v3
	v_mul_f64 v[0:1], v[2:3], s[50:51]
	v_mov_b32_e32 v18, v2
	v_mul_f64 v[2:3], v[14:15], s[16:17]
	s_mov_b32 s2, 0x7faef3
	s_mov_b32 s39, 0x3fd71e95
	;; [unrolled: 1-line block ×7, first 2 shown]
	v_fma_f64 v[6:7], v[203:204], s[2:3], v[2:3]
	v_add_f64 v[12:13], v[112:113], -v[140:141]
	s_mov_b32 s46, 0x2a9d6da3
	s_mov_b32 s8, 0x910ea3b9
	;; [unrolled: 1-line block ×4, first 2 shown]
	v_add_f64 v[10:11], v[108:109], -v[144:145]
	v_add_f64 v[197:198], v[114:115], v[142:143]
	v_add_f64 v[6:7], v[94:95], v[6:7]
	v_mul_f64 v[155:156], v[12:13], s[46:47]
	s_mov_b32 s24, 0x6c9a05f6
	s_mov_b32 s20, 0x75d4884
	;; [unrolled: 1-line block ×4, first 2 shown]
	v_add_f64 v[8:9], v[128:129], -v[124:125]
	v_add_f64 v[195:196], v[110:111], v[146:147]
	s_mov_b32 s42, 0x7c9e640b
	v_fma_f64 v[159:160], v[197:198], s[20:21], v[155:156]
	s_mov_b32 s10, 0x6ed5f1bb
	v_mov_b32_e32 v208, v11
	s_mov_b32 s43, 0x3feca52d
	s_mov_b32 s11, 0xbfe348c8
	v_mov_b32_e32 v207, v10
	v_add_f64 v[193:194], v[130:131], v[126:127]
	s_mov_b32 s34, 0x2b2883cd
	v_mov_b32_e32 v206, v9
	s_mov_b32 s35, 0x3fdc86fa
	v_mov_b32_e32 v205, v8
	v_add_f64 v[215:216], v[96:97], v[168:169]
	v_fma_f64 v[2:3], v[203:204], s[2:3], -v[2:3]
	v_add_f64 v[227:228], v[114:115], -v[142:143]
	v_add_f64 v[211:212], v[110:111], -v[146:147]
	v_add_f64 v[237:238], v[112:113], v[140:141]
	v_add_f64 v[221:222], v[130:131], -v[126:127]
	v_add_f64 v[235:236], v[108:109], v[144:145]
	v_add_f64 v[16:17], v[116:117], -v[136:137]
	v_fma_f64 v[155:156], v[197:198], s[20:21], -v[155:156]
	v_add_f64 v[2:3], v[94:95], v[2:3]
	v_add_f64 v[233:234], v[128:129], v[124:125]
	s_mov_b32 s26, 0x923c349f
	v_mov_b32_e32 v210, v13
	s_mov_b32 s27, 0xbfeec746
	v_mov_b32_e32 v209, v12
	v_add_f64 v[191:192], v[118:119], v[138:139]
	v_add_f64 v[12:13], v[134:135], -v[122:123]
	v_add_f64 v[231:232], v[116:117], v[136:137]
	s_mov_b32 s28, 0xc61f0d01
	s_mov_b32 s29, 0xbfd183b1
	v_add_f64 v[185:186], v[134:135], v[122:123]
	v_add_f64 v[229:230], v[132:133], v[120:121]
	s_mov_b32 s30, 0x3259b75e
	s_mov_b32 s31, 0x3fb79ee6
	;; [unrolled: 1-line block ×5, first 2 shown]
	s_waitcnt vmcnt(15)
	v_add_f64 v[189:190], v[104:105], -v[32:33]
	s_waitcnt vmcnt(11)
	v_add_f64 v[157:158], v[100:101], -v[36:37]
	v_add_f64 v[199:200], v[106:107], v[34:35]
	s_waitcnt vmcnt(9)
	v_add_f64 v[201:202], v[102:103], v[38:39]
	v_add_f64 v[213:214], v[104:105], v[32:33]
	;; [unrolled: 1-line block ×3, first 2 shown]
	s_mov_b32 s54, s24
	s_mov_b32 s37, 0xbfd71e95
	v_mul_f64 v[4:5], v[189:190], s[38:39]
	v_mul_f64 v[151:152], v[157:158], s[22:23]
	v_mov_b32_e32 v218, v158
	v_mov_b32_e32 v217, v157
	s_mov_b32 s36, s38
	s_mov_b32 s53, 0x3feec746
	;; [unrolled: 1-line block ×4, first 2 shown]
	v_fma_f64 v[153:154], v[199:200], s[18:19], v[4:5]
	v_fma_f64 v[157:158], v[201:202], s[8:9], v[151:152]
	v_fma_f64 v[4:5], v[199:200], s[18:19], -v[4:5]
	v_fma_f64 v[151:152], v[201:202], s[8:9], -v[151:152]
	s_mov_b32 s44, s46
	s_mov_b32 s57, 0x3fe0d888
	;; [unrolled: 1-line block ×4, first 2 shown]
	v_add_f64 v[6:7], v[153:154], v[6:7]
	v_mul_f64 v[153:154], v[10:11], s[24:25]
	v_add_f64 v[10:11], v[98:99], -v[170:171]
	buffer_store_dword v167, off, s[60:63], 0 offset:224 ; 4-byte Folded Spill
	buffer_store_dword v168, off, s[60:63], 0 offset:32 ; 4-byte Folded Spill
	s_nop 0
	buffer_store_dword v169, off, s[60:63], 0 offset:36 ; 4-byte Folded Spill
	buffer_store_dword v170, off, s[60:63], 0 offset:40 ; 4-byte Folded Spill
	buffer_store_dword v171, off, s[60:63], 0 offset:44 ; 4-byte Folded Spill
	buffer_store_dword v40, off, s[60:63], 0 offset:88 ; 4-byte Folded Spill
	s_nop 0
	buffer_store_dword v41, off, s[60:63], 0 offset:92 ; 4-byte Folded Spill
	buffer_store_dword v42, off, s[60:63], 0 offset:96 ; 4-byte Folded Spill
	;; [unrolled: 5-line block ×4, first 2 shown]
	buffer_store_dword v179, off, s[60:63], 0 offset:132 ; 4-byte Folded Spill
	v_mul_f64 v[173:174], v[227:228], s[46:47]
	v_add_f64 v[2:3], v[4:5], v[2:3]
	v_add_f64 v[6:7], v[157:158], v[6:7]
	v_mul_f64 v[157:158], v[8:9], s[42:43]
	v_fma_f64 v[161:162], v[195:196], s[10:11], v[153:154]
	v_add_f64 v[8:9], v[106:107], -v[34:35]
	v_mov_b32_e32 v220, v11
	v_mov_b32_e32 v219, v10
	v_fma_f64 v[153:154], v[195:196], s[10:11], -v[153:154]
	v_add_f64 v[2:3], v[151:152], v[2:3]
	v_add_f64 v[6:7], v[159:160], v[6:7]
	v_fma_f64 v[163:164], v[193:194], s[34:35], v[157:158]
	v_mul_f64 v[159:160], v[16:17], s[26:27]
	v_mov_b32_e32 v226, v9
	v_mov_b32_e32 v225, v8
	v_fma_f64 v[157:158], v[193:194], s[34:35], -v[157:158]
	v_mul_f64 v[177:178], v[225:226], s[42:43]
	v_add_f64 v[2:3], v[155:156], v[2:3]
	v_add_f64 v[6:7], v[161:162], v[6:7]
	v_mul_f64 v[161:162], v[10:11], s[16:17]
	v_add_f64 v[10:11], v[102:103], -v[38:39]
	v_fma_f64 v[155:156], v[237:238], s[20:21], v[173:174]
	v_fma_f64 v[165:166], v[191:192], s[28:29], v[159:160]
	v_fma_f64 v[159:160], v[191:192], s[28:29], -v[159:160]
	v_mov_b32_e32 v41, v13
	v_add_f64 v[2:3], v[153:154], v[2:3]
	v_add_f64 v[6:7], v[163:164], v[6:7]
	v_mul_f64 v[163:164], v[8:9], s[38:39]
	v_fma_f64 v[167:168], v[215:216], s[2:3], -v[161:162]
	v_mul_f64 v[169:170], v[10:11], s[22:23]
	v_fma_f64 v[161:162], v[215:216], s[2:3], v[161:162]
	v_add_f64 v[8:9], v[118:119], -v[138:139]
	v_mov_b32_e32 v240, v11
	v_add_f64 v[2:3], v[157:158], v[2:3]
	v_add_f64 v[6:7], v[165:166], v[6:7]
	v_fma_f64 v[171:172], v[213:214], s[18:19], -v[163:164]
	v_add_f64 v[167:168], v[92:93], v[167:168]
	v_fma_f64 v[175:176], v[223:224], s[8:9], -v[169:170]
	v_fma_f64 v[4:5], v[213:214], s[18:19], v[163:164]
	v_add_f64 v[161:162], v[92:93], v[161:162]
	v_mul_f64 v[163:164], v[211:212], s[24:25]
	v_fma_f64 v[151:152], v[223:224], s[8:9], v[169:170]
	v_mov_b32_e32 v43, v9
	v_mov_b32_e32 v239, v10
	v_add_f64 v[167:168], v[171:172], v[167:168]
	v_fma_f64 v[171:172], v[237:238], s[20:21], -v[173:174]
	v_mov_b32_e32 v42, v8
	v_add_f64 v[4:5], v[4:5], v[161:162]
	v_mul_f64 v[161:162], v[221:222], s[42:43]
	v_fma_f64 v[169:170], v[235:236], s[10:11], -v[163:164]
	v_fma_f64 v[153:154], v[235:236], s[10:11], v[163:164]
	v_add_f64 v[2:3], v[159:160], v[2:3]
	v_add_f64 v[167:168], v[175:176], v[167:168]
	v_mov_b32_e32 v40, v12
	s_mov_b32 s48, s42
	v_add_f64 v[4:5], v[151:152], v[4:5]
	v_mul_f64 v[151:152], v[8:9], s[26:27]
	v_fma_f64 v[157:158], v[233:234], s[34:35], v[161:162]
	v_add_f64 v[98:99], v[94:95], v[98:99]
	v_add_f64 v[96:97], v[92:93], v[96:97]
	v_add_f64 v[167:168], v[171:172], v[167:168]
	v_fma_f64 v[171:172], v[233:234], s[34:35], -v[161:162]
	v_add_f64 v[4:5], v[155:156], v[4:5]
	v_mul_f64 v[155:156], v[12:13], s[50:51]
	v_fma_f64 v[163:164], v[231:232], s[28:29], -v[151:152]
	v_fma_f64 v[151:152], v[231:232], s[28:29], v[151:152]
	v_mov_b32_e32 v12, v184
	v_add_f64 v[167:168], v[169:170], v[167:168]
	v_mul_f64 v[169:170], v[219:220], s[22:23]
	v_add_f64 v[98:99], v[98:99], v[106:107]
	v_add_f64 v[4:5], v[153:154], v[4:5]
	v_fma_f64 v[153:154], v[185:186], s[30:31], v[0:1]
	v_fma_f64 v[161:162], v[229:230], s[30:31], -v[155:156]
	v_fma_f64 v[0:1], v[185:186], s[30:31], -v[0:1]
	v_add_f64 v[96:97], v[96:97], v[104:105]
	v_add_f64 v[167:168], v[171:172], v[167:168]
	v_mul_f64 v[171:172], v[217:218], s[40:41]
	v_add_f64 v[98:99], v[98:99], v[102:103]
	v_add_f64 v[4:5], v[157:158], v[4:5]
	;; [unrolled: 1-line block ×3, first 2 shown]
	v_mul_f64 v[153:154], v[205:206], s[16:17]
	v_mul_f64 v[6:7], v[16:17], s[46:47]
	;; [unrolled: 1-line block ×3, first 2 shown]
	v_add_f64 v[163:164], v[163:164], v[167:168]
	v_mul_f64 v[167:168], v[209:210], s[54:55]
	v_fma_f64 v[249:250], v[201:202], s[30:31], v[171:172]
	v_fma_f64 v[171:172], v[201:202], s[30:31], -v[171:172]
	v_add_f64 v[96:97], v[96:97], v[100:101]
	v_fma_f64 v[159:160], v[193:194], s[2:3], v[153:154]
	v_fma_f64 v[153:154], v[193:194], s[2:3], -v[153:154]
	v_add_f64 v[98:99], v[98:99], v[114:115]
	v_add_f64 v[8:9], v[161:162], v[163:164]
	v_mul_f64 v[163:164], v[189:190], s[42:43]
	v_mul_f64 v[161:162], v[207:208], s[36:37]
	;; [unrolled: 1-line block ×3, first 2 shown]
	v_add_f64 v[96:97], v[96:97], v[112:113]
	buffer_store_dword v8, off, s[60:63], 0 offset:228 ; 4-byte Folded Spill
	s_nop 0
	buffer_store_dword v9, off, s[60:63], 0 offset:232 ; 4-byte Folded Spill
	buffer_store_dword v10, off, s[60:63], 0 offset:236 ; 4-byte Folded Spill
	;; [unrolled: 1-line block ×3, first 2 shown]
	v_add_f64 v[10:11], v[0:1], v[2:3]
	v_add_f64 v[2:3], v[151:152], v[4:5]
	v_mul_f64 v[151:152], v[14:15], s[22:23]
	v_fma_f64 v[173:174], v[199:200], s[34:35], v[163:164]
	buffer_store_dword v180, off, s[60:63], 0 offset:136 ; 4-byte Folded Spill
	s_nop 0
	buffer_store_dword v181, off, s[60:63], 0 offset:140 ; 4-byte Folded Spill
	buffer_store_dword v182, off, s[60:63], 0 offset:144 ; 4-byte Folded Spill
	;; [unrolled: 1-line block ×3, first 2 shown]
	v_fma_f64 v[179:180], v[215:216], s[8:9], -v[169:170]
	v_fma_f64 v[169:170], v[215:216], s[8:9], v[169:170]
	v_fma_f64 v[181:182], v[197:198], s[10:11], v[167:168]
	buffer_store_dword v148, off, s[60:63], 0 offset:152 ; 4-byte Folded Spill
	buffer_store_dword v149, off, s[60:63], 0 offset:160 ; 4-byte Folded Spill
	v_fma_f64 v[148:149], v[213:214], s[34:35], -v[177:178]
	v_fma_f64 v[165:166], v[203:204], s[8:9], v[151:152]
	v_fma_f64 v[151:152], v[203:204], s[8:9], -v[151:152]
	v_fma_f64 v[163:164], v[199:200], s[34:35], -v[163:164]
	v_fma_f64 v[177:178], v[213:214], s[34:35], v[177:178]
	v_add_f64 v[169:170], v[92:93], v[169:170]
	v_fma_f64 v[175:176], v[195:196], s[18:19], v[161:162]
	v_fma_f64 v[167:168], v[197:198], s[10:11], -v[167:168]
	v_fma_f64 v[0:1], v[229:230], s[30:31], v[155:156]
	v_add_f64 v[165:166], v[94:95], v[165:166]
	v_add_f64 v[151:152], v[94:95], v[151:152]
	v_fma_f64 v[155:156], v[191:192], s[20:21], v[6:7]
	v_add_f64 v[179:180], v[92:93], v[179:180]
	v_add_f64 v[169:170], v[177:178], v[169:170]
	v_fma_f64 v[161:162], v[195:196], s[18:19], -v[161:162]
	v_fma_f64 v[4:5], v[185:186], s[28:29], v[157:158]
	v_add_f64 v[8:9], v[0:1], v[2:3]
	v_add_f64 v[165:166], v[173:174], v[165:166]
	v_mul_f64 v[173:174], v[239:240], s[40:41]
	v_add_f64 v[151:152], v[163:164], v[151:152]
	v_add_f64 v[148:149], v[148:149], v[179:180]
	buffer_store_dword v8, off, s[60:63], 0 offset:244 ; 4-byte Folded Spill
	s_nop 0
	buffer_store_dword v9, off, s[60:63], 0 offset:248 ; 4-byte Folded Spill
	buffer_store_dword v10, off, s[60:63], 0 offset:252 ; 4-byte Folded Spill
	;; [unrolled: 1-line block ×3, first 2 shown]
	v_add_f64 v[165:166], v[249:250], v[165:166]
	v_mul_f64 v[249:250], v[227:228], s[54:55]
	v_fma_f64 v[163:164], v[223:224], s[30:31], v[173:174]
	v_fma_f64 v[251:252], v[223:224], s[30:31], -v[173:174]
	v_mul_f64 v[173:174], v[211:212], s[36:37]
	v_add_f64 v[151:152], v[171:172], v[151:152]
	v_mul_f64 v[8:9], v[239:240], s[36:37]
	v_fma_f64 v[6:7], v[191:192], s[20:21], -v[6:7]
	v_add_f64 v[165:166], v[181:182], v[165:166]
	v_fma_f64 v[171:172], v[237:238], s[10:11], v[249:250]
	v_add_f64 v[163:164], v[163:164], v[169:170]
	v_mul_f64 v[169:170], v[221:222], s[16:17]
	v_fma_f64 v[177:178], v[237:238], s[10:11], -v[249:250]
	v_add_f64 v[151:152], v[167:168], v[151:152]
	v_fma_f64 v[167:168], v[235:236], s[18:19], v[173:174]
	v_add_f64 v[148:149], v[251:252], v[148:149]
	v_add_f64 v[165:166], v[175:176], v[165:166]
	v_fma_f64 v[175:176], v[235:236], s[18:19], -v[173:174]
	v_add_f64 v[163:164], v[171:172], v[163:164]
	v_fma_f64 v[171:172], v[233:234], s[2:3], -v[169:170]
	v_mul_f64 v[173:174], v[217:218], s[36:37]
	v_add_f64 v[151:152], v[161:162], v[151:152]
	v_fma_f64 v[161:162], v[233:234], s[2:3], v[169:170]
	v_add_f64 v[148:149], v[177:178], v[148:149]
	v_add_f64 v[159:160], v[159:160], v[165:166]
	v_mul_f64 v[165:166], v[42:43], s[46:47]
	v_add_f64 v[163:164], v[167:168], v[163:164]
	v_mul_f64 v[177:178], v[225:226], s[52:53]
	v_mul_f64 v[249:250], v[209:210], s[22:23]
	v_add_f64 v[151:152], v[153:154], v[151:152]
	v_fma_f64 v[251:252], v[201:202], s[18:19], v[173:174]
	v_add_f64 v[148:149], v[175:176], v[148:149]
	v_add_f64 v[155:156], v[155:156], v[159:160]
	v_fma_f64 v[167:168], v[231:232], s[20:21], -v[165:166]
	v_add_f64 v[161:162], v[161:162], v[163:164]
	v_mul_f64 v[163:164], v[219:220], s[24:25]
	v_fma_f64 v[153:154], v[231:232], s[20:21], v[165:166]
	v_mul_f64 v[165:166], v[189:190], s[52:53]
	v_fma_f64 v[10:11], v[213:214], s[28:29], -v[177:178]
	buffer_store_dword v254, off, s[60:63], 0 offset:48 ; 4-byte Folded Spill
	buffer_store_dword v255, off, s[60:63], 0 offset:64 ; 4-byte Folded Spill
	v_add_f64 v[243:244], v[4:5], v[155:156]
	v_fma_f64 v[4:5], v[185:186], s[28:29], -v[157:158]
	v_mul_f64 v[157:158], v[14:15], s[24:25]
	v_fma_f64 v[179:180], v[215:216], s[10:11], -v[163:164]
	v_mul_f64 v[254:255], v[227:228], s[22:23]
	v_fma_f64 v[181:182], v[199:200], s[28:29], v[165:166]
	v_fma_f64 v[165:166], v[199:200], s[28:29], -v[165:166]
	v_fma_f64 v[163:164], v[215:216], s[10:11], v[163:164]
	v_fma_f64 v[183:184], v[223:224], s[18:19], -v[8:9]
	v_mul_f64 v[159:160], v[40:41], s[26:27]
	v_fma_f64 v[169:170], v[203:204], s[10:11], v[157:158]
	v_fma_f64 v[157:158], v[203:204], s[10:11], -v[157:158]
	v_add_f64 v[179:180], v[92:93], v[179:180]
	v_add_f64 v[148:149], v[171:172], v[148:149]
	;; [unrolled: 1-line block ×4, first 2 shown]
	v_mul_f64 v[161:162], v[207:208], s[50:51]
	v_fma_f64 v[173:174], v[201:202], s[18:19], -v[173:174]
	v_add_f64 v[169:170], v[94:95], v[169:170]
	v_add_f64 v[157:158], v[94:95], v[157:158]
	;; [unrolled: 1-line block ×3, first 2 shown]
	v_fma_f64 v[177:178], v[213:214], s[28:29], v[177:178]
	v_add_f64 v[163:164], v[92:93], v[163:164]
	v_fma_f64 v[179:180], v[237:238], s[8:9], -v[254:255]
	v_fma_f64 v[0:1], v[229:230], s[28:29], -v[159:160]
	v_add_f64 v[2:3], v[167:168], v[148:149]
	v_add_f64 v[169:170], v[181:182], v[169:170]
	v_fma_f64 v[181:182], v[197:198], s[8:9], v[249:250]
	v_add_f64 v[157:158], v[165:166], v[157:158]
	v_add_f64 v[10:11], v[183:184], v[10:11]
	v_fma_f64 v[148:149], v[229:230], s[28:29], v[159:160]
	v_mul_f64 v[159:160], v[205:206], s[44:45]
	v_fma_f64 v[175:176], v[195:196], s[30:31], v[161:162]
	v_fma_f64 v[183:184], v[197:198], s[8:9], -v[249:250]
	v_add_f64 v[165:166], v[251:252], v[169:170]
	v_mul_f64 v[169:170], v[211:212], s[50:51]
	v_add_f64 v[157:158], v[173:174], v[157:158]
	v_mul_f64 v[173:174], v[221:222], s[44:45]
	v_fma_f64 v[8:9], v[223:224], s[18:19], v[8:9]
	v_add_f64 v[163:164], v[177:178], v[163:164]
	v_add_f64 v[10:11], v[179:180], v[10:11]
	v_mul_f64 v[155:156], v[16:17], s[16:17]
	v_add_f64 v[165:166], v[181:182], v[165:166]
	v_fma_f64 v[177:178], v[235:236], s[30:31], -v[169:170]
	v_fma_f64 v[171:172], v[193:194], s[20:21], v[159:160]
	v_fma_f64 v[161:162], v[195:196], s[30:31], -v[161:162]
	v_add_f64 v[157:158], v[183:184], v[157:158]
	v_add_f64 v[8:9], v[8:9], v[163:164]
	v_fma_f64 v[163:164], v[233:234], s[20:21], -v[173:174]
	v_fma_f64 v[179:180], v[237:238], s[8:9], v[254:255]
	v_add_f64 v[165:166], v[175:176], v[165:166]
	v_mul_f64 v[175:176], v[42:43], s[16:17]
	v_add_f64 v[10:11], v[177:178], v[10:11]
	v_mul_f64 v[153:154], v[18:19], s[42:43]
	v_fma_f64 v[167:168], v[191:192], s[2:3], v[155:156]
	v_fma_f64 v[159:160], v[193:194], s[20:21], -v[159:160]
	v_add_f64 v[157:158], v[161:162], v[157:158]
	v_fma_f64 v[169:170], v[235:236], s[30:31], v[169:170]
	v_add_f64 v[161:162], v[171:172], v[165:166]
	v_mul_f64 v[165:166], v[40:41], s[42:43]
	v_fma_f64 v[171:172], v[231:232], s[2:3], -v[175:176]
	v_add_f64 v[10:11], v[163:164], v[10:11]
	v_add_f64 v[8:9], v[179:180], v[8:9]
	;; [unrolled: 1-line block ×6, first 2 shown]
	v_fma_f64 v[159:160], v[185:186], s[34:35], v[153:154]
	v_add_f64 v[161:162], v[167:168], v[161:162]
	v_fma_f64 v[167:168], v[229:230], s[34:35], -v[165:166]
	v_add_f64 v[10:11], v[171:172], v[10:11]
	v_fma_f64 v[163:164], v[233:234], s[20:21], v[173:174]
	v_add_f64 v[8:9], v[169:170], v[8:9]
	v_fma_f64 v[155:156], v[191:192], s[2:3], -v[155:156]
	buffer_store_dword v241, off, s[60:63], 0 offset:260 ; 4-byte Folded Spill
	s_nop 0
	buffer_store_dword v242, off, s[60:63], 0 offset:264 ; 4-byte Folded Spill
	buffer_store_dword v243, off, s[60:63], 0 offset:268 ; 4-byte Folded Spill
	;; [unrolled: 1-line block ×4, first 2 shown]
	s_nop 0
	buffer_store_dword v5, off, s[60:63], 0 offset:296 ; 4-byte Folded Spill
	buffer_store_dword v6, off, s[60:63], 0 offset:300 ; 4-byte Folded Spill
	;; [unrolled: 1-line block ×3, first 2 shown]
	v_add_f64 v[6:7], v[159:160], v[161:162]
	v_fma_f64 v[169:170], v[185:186], s[34:35], -v[153:154]
	v_add_f64 v[4:5], v[167:168], v[10:11]
	v_mul_f64 v[10:11], v[219:220], s[26:27]
	v_add_f64 v[2:3], v[163:164], v[8:9]
	v_mul_f64 v[8:9], v[14:15], s[26:27]
	v_add_f64 v[155:156], v[155:156], v[157:158]
	buffer_store_dword v4, off, s[60:63], 0 offset:276 ; 4-byte Folded Spill
	s_nop 0
	buffer_store_dword v5, off, s[60:63], 0 offset:280 ; 4-byte Folded Spill
	buffer_store_dword v6, off, s[60:63], 0 offset:284 ; 4-byte Folded Spill
	;; [unrolled: 1-line block ×3, first 2 shown]
	v_fma_f64 v[4:5], v[229:230], s[34:35], v[165:166]
	v_mul_f64 v[148:149], v[189:190], s[56:57]
	v_fma_f64 v[164:165], v[203:204], s[28:29], v[8:9]
	v_add_f64 v[157:158], v[169:170], v[155:156]
	v_mul_f64 v[166:167], v[225:226], s[56:57]
	v_fma_f64 v[168:169], v[215:216], s[28:29], -v[10:11]
	v_mul_f64 v[170:171], v[217:218], s[46:47]
	v_fma_f64 v[8:9], v[203:204], s[28:29], -v[8:9]
	v_fma_f64 v[0:1], v[231:232], s[2:3], v[175:176]
	v_fma_f64 v[172:173], v[199:200], s[8:9], v[148:149]
	v_add_f64 v[164:165], v[94:95], v[164:165]
	v_mul_f64 v[174:175], v[239:240], s[46:47]
	v_fma_f64 v[176:177], v[213:214], s[8:9], -v[166:167]
	v_add_f64 v[168:169], v[92:93], v[168:169]
	v_mul_f64 v[178:179], v[209:210], s[48:49]
	v_fma_f64 v[180:181], v[201:202], s[20:21], v[170:171]
	v_fma_f64 v[148:149], v[199:200], s[8:9], -v[148:149]
	v_add_f64 v[8:9], v[94:95], v[8:9]
	v_add_f64 v[164:165], v[172:173], v[164:165]
	v_mul_f64 v[172:173], v[227:228], s[48:49]
	v_fma_f64 v[182:183], v[223:224], s[20:21], -v[174:175]
	v_add_f64 v[168:169], v[176:177], v[168:169]
	v_mul_f64 v[176:177], v[207:208], s[16:17]
	v_fma_f64 v[249:250], v[197:198], s[34:35], v[178:179]
	v_fma_f64 v[170:171], v[201:202], s[20:21], -v[170:171]
	v_add_f64 v[8:9], v[148:149], v[8:9]
	;; [unrolled: 8-line block ×3, first 2 shown]
	v_add_f64 v[148:149], v[249:250], v[148:149]
	v_mul_f64 v[170:171], v[221:222], s[50:51]
	v_fma_f64 v[249:250], v[235:236], s[2:3], -v[164:165]
	v_add_f64 v[168:169], v[180:181], v[168:169]
	v_mul_f64 v[6:7], v[16:17], s[36:37]
	v_fma_f64 v[180:181], v[193:194], s[30:31], v[182:183]
	v_fma_f64 v[176:177], v[195:196], s[2:3], -v[176:177]
	v_fma_f64 v[10:11], v[215:216], s[28:29], v[10:11]
	v_add_f64 v[148:149], v[251:252], v[148:149]
	v_add_f64 v[8:9], v[178:179], v[8:9]
	v_mul_f64 v[251:252], v[42:43], s[36:37]
	v_fma_f64 v[178:179], v[233:234], s[30:31], -v[170:171]
	v_add_f64 v[168:169], v[249:250], v[168:169]
	v_mov_b32_e32 v152, v41
	v_add_f64 v[0:1], v[0:1], v[2:3]
	v_fma_f64 v[155:156], v[191:192], s[18:19], v[6:7]
	v_add_f64 v[148:149], v[180:181], v[148:149]
	v_mov_b32_e32 v151, v40
	v_mul_f64 v[2:3], v[18:19], s[24:25]
	v_fma_f64 v[166:167], v[213:214], s[8:9], v[166:167]
	v_add_f64 v[10:11], v[92:93], v[10:11]
	v_add_f64 v[8:9], v[176:177], v[8:9]
	v_mul_f64 v[176:177], v[151:152], s[24:25]
	v_fma_f64 v[180:181], v[231:232], s[18:19], -v[251:252]
	v_add_f64 v[168:169], v[178:179], v[168:169]
	v_fma_f64 v[182:183], v[193:194], s[30:31], -v[182:183]
	v_add_f64 v[148:149], v[155:156], v[148:149]
	v_add_f64 v[155:156], v[4:5], v[0:1]
	;; [unrolled: 1-line block ×3, first 2 shown]
	v_fma_f64 v[166:167], v[185:186], s[10:11], v[2:3]
	v_fma_f64 v[178:179], v[229:230], s[10:11], -v[176:177]
	v_fma_f64 v[6:7], v[191:192], s[18:19], -v[6:7]
	v_add_f64 v[168:169], v[180:181], v[168:169]
	v_fma_f64 v[174:175], v[223:224], s[20:21], v[174:175]
	v_add_f64 v[8:9], v[182:183], v[8:9]
	buffer_store_dword v155, off, s[60:63], 0 offset:324 ; 4-byte Folded Spill
	s_nop 0
	buffer_store_dword v156, off, s[60:63], 0 offset:328 ; 4-byte Folded Spill
	buffer_store_dword v157, off, s[60:63], 0 offset:332 ; 4-byte Folded Spill
	;; [unrolled: 1-line block ×3, first 2 shown]
	v_fma_f64 v[2:3], v[185:186], s[10:11], -v[2:3]
	v_add_f64 v[155:156], v[166:167], v[148:149]
	v_fma_f64 v[180:181], v[237:238], s[34:35], v[172:173]
	v_mul_f64 v[0:1], v[14:15], s[40:41]
	v_add_f64 v[153:154], v[178:179], v[168:169]
	v_add_f64 v[10:11], v[174:175], v[10:11]
	;; [unrolled: 1-line block ×3, first 2 shown]
	v_mul_f64 v[8:9], v[219:220], s[40:41]
	buffer_store_dword v153, off, s[60:63], 0 offset:308 ; 4-byte Folded Spill
	s_nop 0
	buffer_store_dword v154, off, s[60:63], 0 offset:312 ; 4-byte Folded Spill
	buffer_store_dword v155, off, s[60:63], 0 offset:316 ; 4-byte Folded Spill
	;; [unrolled: 1-line block ×3, first 2 shown]
	v_fma_f64 v[4:5], v[235:236], s[2:3], v[164:165]
	v_add_f64 v[10:11], v[180:181], v[10:11]
	v_add_f64 v[153:154], v[2:3], v[6:7]
	v_mul_f64 v[6:7], v[189:190], s[16:17]
	v_fma_f64 v[148:149], v[203:204], s[30:31], v[0:1]
	v_mul_f64 v[166:167], v[225:226], s[16:17]
	v_fma_f64 v[168:169], v[215:216], s[30:31], -v[8:9]
	v_fma_f64 v[2:3], v[229:230], s[10:11], v[176:177]
	v_fma_f64 v[164:165], v[233:234], s[30:31], v[170:171]
	v_add_f64 v[4:5], v[4:5], v[10:11]
	v_mul_f64 v[170:171], v[217:218], s[52:53]
	v_fma_f64 v[176:177], v[199:200], s[2:3], v[6:7]
	v_add_f64 v[148:149], v[94:95], v[148:149]
	v_mul_f64 v[249:250], v[239:240], s[52:53]
	v_fma_f64 v[180:181], v[213:214], s[2:3], -v[166:167]
	v_add_f64 v[168:169], v[92:93], v[168:169]
	v_fma_f64 v[10:11], v[231:232], s[18:19], v[251:252]
	v_add_f64 v[4:5], v[164:165], v[4:5]
	v_fma_f64 v[0:1], v[203:204], s[30:31], -v[0:1]
	v_mul_f64 v[164:165], v[209:210], s[38:39]
	v_fma_f64 v[182:183], v[201:202], s[28:29], v[170:171]
	v_add_f64 v[148:149], v[176:177], v[148:149]
	v_mul_f64 v[251:252], v[227:228], s[38:39]
	v_fma_f64 v[176:177], v[223:224], s[28:29], -v[249:250]
	v_add_f64 v[168:169], v[180:181], v[168:169]
	v_mov_b32_e32 v184, v12
	v_fma_f64 v[6:7], v[199:200], s[2:3], -v[6:7]
	v_add_f64 v[0:1], v[94:95], v[0:1]
	v_mul_f64 v[180:181], v[207:208], s[48:49]
	v_fma_f64 v[254:255], v[197:198], s[18:19], v[164:165]
	v_add_f64 v[148:149], v[182:183], v[148:149]
	v_mul_f64 v[12:13], v[211:212], s[48:49]
	v_fma_f64 v[182:183], v[237:238], s[18:19], -v[251:252]
	v_add_f64 v[168:169], v[176:177], v[168:169]
	v_mov_b32_e32 v157, v205
	v_mov_b32_e32 v158, v206
	v_fma_f64 v[170:171], v[201:202], s[28:29], -v[170:171]
	v_add_f64 v[0:1], v[6:7], v[0:1]
	v_mul_f64 v[6:7], v[157:158], s[22:23]
	v_fma_f64 v[176:177], v[195:196], s[34:35], v[180:181]
	v_add_f64 v[148:149], v[254:255], v[148:149]
	v_mul_f64 v[254:255], v[221:222], s[22:23]
	buffer_store_dword v187, off, s[60:63], 0 offset:192 ; 4-byte Folded Spill
	v_mov_b32_e32 v161, v188
	v_fma_f64 v[187:188], v[235:236], s[34:35], -v[12:13]
	v_add_f64 v[168:169], v[182:183], v[168:169]
	v_fma_f64 v[164:165], v[197:198], s[18:19], -v[164:165]
	v_add_f64 v[0:1], v[170:171], v[0:1]
	v_mul_f64 v[170:171], v[16:17], s[54:55]
	v_fma_f64 v[182:183], v[193:194], s[8:9], v[6:7]
	v_add_f64 v[148:149], v[176:177], v[148:149]
	v_mul_f64 v[205:206], v[42:43], s[54:55]
	v_fma_f64 v[176:177], v[233:234], s[8:9], -v[254:255]
	v_add_f64 v[168:169], v[187:188], v[168:169]
	v_mov_b32_e32 v159, v207
	v_mov_b32_e32 v160, v208
	v_fma_f64 v[180:181], v[195:196], s[34:35], -v[180:181]
	v_add_f64 v[0:1], v[164:165], v[0:1]
	v_mul_f64 v[164:165], v[18:19], s[46:47]
	v_fma_f64 v[187:188], v[191:192], s[10:11], v[170:171]
	v_add_f64 v[148:149], v[182:183], v[148:149]
	v_mul_f64 v[207:208], v[151:152], s[46:47]
	v_fma_f64 v[182:183], v[231:232], s[10:11], -v[205:206]
	v_add_f64 v[168:169], v[176:177], v[168:169]
	v_fma_f64 v[6:7], v[193:194], s[8:9], -v[6:7]
	v_add_f64 v[0:1], v[180:181], v[0:1]
	v_add_f64 v[4:5], v[10:11], v[4:5]
	v_fma_f64 v[10:11], v[185:186], s[20:21], v[164:165]
	v_add_f64 v[148:149], v[187:188], v[148:149]
	v_fma_f64 v[8:9], v[215:216], s[30:31], v[8:9]
	v_fma_f64 v[180:181], v[229:230], s[20:21], -v[207:208]
	v_add_f64 v[168:169], v[182:183], v[168:169]
	v_mov_b32_e32 v155, v219
	v_add_f64 v[0:1], v[6:7], v[0:1]
	v_add_f64 v[151:152], v[2:3], v[4:5]
	v_mov_b32_e32 v156, v220
	v_add_f64 v[10:11], v[10:11], v[148:149]
	v_add_f64 v[6:7], v[92:93], v[8:9]
	buffer_store_dword v151, off, s[60:63], 0 offset:340 ; 4-byte Folded Spill
	s_nop 0
	buffer_store_dword v152, off, s[60:63], 0 offset:344 ; 4-byte Folded Spill
	buffer_store_dword v153, off, s[60:63], 0 offset:348 ; 4-byte Folded Spill
	buffer_store_dword v154, off, s[60:63], 0 offset:352 ; 4-byte Folded Spill
	v_add_f64 v[8:9], v[180:181], v[168:169]
	buffer_store_dword v8, off, s[60:63], 0 offset:356 ; 4-byte Folded Spill
	s_nop 0
	buffer_store_dword v9, off, s[60:63], 0 offset:360 ; 4-byte Folded Spill
	buffer_store_dword v10, off, s[60:63], 0 offset:364 ; 4-byte Folded Spill
	;; [unrolled: 1-line block ×4, first 2 shown]
	s_nop 0
	buffer_store_dword v156, off, s[60:63], 0 offset:376 ; 4-byte Folded Spill
	v_mul_f64 v[4:5], v[14:15], s[48:49]
	v_fma_f64 v[170:171], v[191:192], s[10:11], -v[170:171]
	v_fma_f64 v[2:3], v[213:214], s[2:3], v[166:167]
	v_fma_f64 v[8:9], v[185:186], s[20:21], -v[164:165]
	v_mul_f64 v[148:149], v[189:190], s[24:25]
	v_mov_b32_e32 v178, v217
	v_mov_b32_e32 v179, v218
	s_mov_b32 s51, 0x3fc7851a
	v_fma_f64 v[164:165], v[203:204], s[34:35], v[4:5]
	s_mov_b32 s50, s16
	v_add_f64 v[0:1], v[170:171], v[0:1]
	v_fma_f64 v[10:11], v[223:224], s[28:29], v[249:250]
	v_add_f64 v[2:3], v[2:3], v[6:7]
	v_mul_f64 v[166:167], v[178:179], s[50:51]
	v_fma_f64 v[170:171], v[199:200], s[10:11], v[148:149]
	v_mov_b32_e32 v172, v209
	v_add_f64 v[164:165], v[94:95], v[164:165]
	v_mov_b32_e32 v182, v225
	v_mov_b32_e32 v173, v210
	;; [unrolled: 1-line block ×3, first 2 shown]
	v_fma_f64 v[6:7], v[237:238], s[18:19], v[251:252]
	v_add_f64 v[2:3], v[10:11], v[2:3]
	v_fma_f64 v[10:11], v[229:230], s[20:21], v[207:208]
	v_mul_f64 v[187:188], v[182:183], s[24:25]
	v_mul_f64 v[249:250], v[172:173], s[52:53]
	v_fma_f64 v[251:252], v[201:202], s[2:3], v[166:167]
	v_add_f64 v[164:165], v[170:171], v[164:165]
	v_mov_b32_e32 v180, v239
	v_mov_b32_e32 v181, v240
	v_fma_f64 v[12:13], v[235:236], s[34:35], v[12:13]
	v_add_f64 v[2:3], v[6:7], v[2:3]
	v_fma_f64 v[6:7], v[233:234], s[8:9], v[254:255]
	v_mul_f64 v[170:171], v[180:181], s[50:51]
	v_fma_f64 v[254:255], v[213:214], s[10:11], -v[187:188]
	v_mul_f64 v[209:210], v[159:160], s[46:47]
	v_fma_f64 v[217:218], v[197:198], s[28:29], v[249:250]
	v_add_f64 v[164:165], v[251:252], v[164:165]
	v_fma_f64 v[4:5], v[203:204], s[34:35], -v[4:5]
	v_add_f64 v[2:3], v[12:13], v[2:3]
	v_fma_f64 v[12:13], v[231:232], s[10:11], v[205:206]
	v_mul_f64 v[205:206], v[227:228], s[52:53]
	v_fma_f64 v[251:252], v[223:224], s[2:3], -v[170:171]
	v_fma_f64 v[219:220], v[195:196], s[20:21], v[209:210]
	v_fma_f64 v[148:149], v[199:200], s[10:11], -v[148:149]
	v_add_f64 v[164:165], v[217:218], v[164:165]
	v_add_f64 v[4:5], v[94:95], v[4:5]
	v_mov_b32_e32 v175, v41
	v_mov_b32_e32 v174, v40
	;; [unrolled: 1-line block ×4, first 2 shown]
	v_add_f64 v[2:3], v[6:7], v[2:3]
	v_mul_f64 v[6:7], v[211:212], s[46:47]
	v_fma_f64 v[217:218], v[237:238], s[28:29], -v[205:206]
	v_add_f64 v[164:165], v[219:220], v[164:165]
	v_fma_f64 v[166:167], v[201:202], s[2:3], -v[166:167]
	v_add_f64 v[4:5], v[148:149], v[4:5]
	v_mov_b32_e32 v163, v19
	v_mov_b32_e32 v162, v18
	v_mul_f64 v[219:220], v[221:222], s[36:37]
	v_fma_f64 v[239:240], v[235:236], s[20:21], -v[6:7]
	v_add_f64 v[12:13], v[12:13], v[2:3]
	v_fma_f64 v[249:250], v[197:198], s[28:29], -v[249:250]
	v_mov_b32_e32 v177, v43
	v_add_f64 v[4:5], v[166:167], v[4:5]
	v_mov_b32_e32 v176, v42
	v_add_f64 v[153:154], v[8:9], v[0:1]
	v_fma_f64 v[148:149], v[233:234], s[18:19], -v[219:220]
	v_fma_f64 v[8:9], v[195:196], s[20:21], -v[209:210]
	v_add_f64 v[151:152], v[10:11], v[12:13]
	v_mul_f64 v[10:11], v[14:15], s[44:45]
	v_mul_f64 v[209:210], v[189:190], s[40:41]
	v_add_f64 v[4:5], v[249:250], v[4:5]
	v_fma_f64 v[187:188], v[213:214], s[10:11], v[187:188]
	v_fma_f64 v[205:206], v[237:238], s[28:29], v[205:206]
	v_mul_f64 v[247:248], v[159:160], s[56:57]
	v_fma_f64 v[6:7], v[235:236], s[20:21], v[6:7]
	v_mov_b32_e32 v0, v28
	v_mov_b32_e32 v1, v29
	v_mul_f64 v[168:169], v[155:156], s[48:49]
	v_add_f64 v[4:5], v[8:9], v[4:5]
	v_fma_f64 v[249:250], v[199:200], s[30:31], v[209:210]
	v_mov_b32_e32 v2, v30
	v_mov_b32_e32 v3, v31
	v_fma_f64 v[30:31], v[195:196], s[8:9], -v[247:248]
	v_mul_f64 v[14:15], v[14:15], s[36:37]
	v_mul_f64 v[189:190], v[189:190], s[44:45]
	v_fma_f64 v[207:208], v[215:216], s[34:35], -v[168:169]
	v_mul_f64 v[100:101], v[159:160], s[26:27]
	v_mul_f64 v[112:113], v[211:212], s[26:27]
	v_add_f64 v[207:208], v[92:93], v[207:208]
	v_add_f64 v[207:208], v[254:255], v[207:208]
	v_mul_f64 v[254:255], v[157:158], s[36:37]
	v_add_f64 v[207:208], v[251:252], v[207:208]
	v_mul_f64 v[251:252], v[40:41], s[40:41]
	v_fma_f64 v[225:226], v[193:194], s[18:19], v[254:255]
	v_add_f64 v[207:208], v[217:218], v[207:208]
	v_mul_f64 v[217:218], v[162:163], s[22:23]
	v_fma_f64 v[241:242], v[191:192], s[30:31], v[251:252]
	v_add_f64 v[164:165], v[225:226], v[164:165]
	v_mul_f64 v[225:226], v[176:177], s[40:41]
	v_fma_f64 v[8:9], v[191:192], s[30:31], -v[251:252]
	v_mul_f64 v[251:252], v[182:183], s[40:41]
	v_add_f64 v[207:208], v[239:240], v[207:208]
	v_fma_f64 v[239:240], v[185:186], s[8:9], v[217:218]
	v_add_f64 v[164:165], v[241:242], v[164:165]
	v_fma_f64 v[243:244], v[231:232], s[30:31], -v[225:226]
	v_mul_f64 v[241:242], v[174:175], s[22:23]
	v_fma_f64 v[245:246], v[213:214], s[30:31], -v[251:252]
	v_add_f64 v[148:149], v[148:149], v[207:208]
	v_fma_f64 v[207:208], v[185:186], s[8:9], -v[217:218]
	v_fma_f64 v[217:218], v[203:204], s[20:21], v[10:11]
	v_add_f64 v[166:167], v[239:240], v[164:165]
	v_fma_f64 v[164:165], v[215:216], s[34:35], v[168:169]
	v_fma_f64 v[168:169], v[193:194], s[18:19], -v[254:255]
	v_mul_f64 v[239:240], v[155:156], s[44:45]
	v_mov_b32_e32 v156, v41
	v_add_f64 v[148:149], v[243:244], v[148:149]
	v_mul_f64 v[243:244], v[178:179], s[24:25]
	v_add_f64 v[217:218], v[94:95], v[217:218]
	v_mov_b32_e32 v155, v40
	v_add_f64 v[164:165], v[92:93], v[164:165]
	v_add_f64 v[4:5], v[168:169], v[4:5]
	v_fma_f64 v[168:169], v[223:224], s[2:3], v[170:171]
	v_fma_f64 v[170:171], v[215:216], s[20:21], -v[239:240]
	v_fma_f64 v[10:11], v[203:204], s[20:21], -v[10:11]
	v_fma_f64 v[254:255], v[201:202], s[10:11], v[243:244]
	v_add_f64 v[217:218], v[249:250], v[217:218]
	v_mul_f64 v[249:250], v[180:181], s[24:25]
	v_add_f64 v[164:165], v[187:188], v[164:165]
	v_mul_f64 v[187:188], v[172:173], s[16:17]
	v_add_f64 v[4:5], v[8:9], v[4:5]
	v_add_f64 v[170:171], v[92:93], v[170:171]
	v_mul_f64 v[8:9], v[176:177], s[42:43]
	v_add_f64 v[10:11], v[94:95], v[10:11]
	v_add_f64 v[217:218], v[254:255], v[217:218]
	v_mul_f64 v[254:255], v[227:228], s[16:17]
	v_add_f64 v[164:165], v[168:169], v[164:165]
	v_fma_f64 v[168:169], v[197:198], s[2:3], v[187:188]
	v_fma_f64 v[16:17], v[223:224], s[10:11], -v[249:250]
	v_add_f64 v[18:19], v[245:246], v[170:171]
	v_fma_f64 v[170:171], v[195:196], s[8:9], v[247:248]
	v_fma_f64 v[28:29], v[231:232], s[34:35], -v[8:9]
	v_fma_f64 v[12:13], v[229:230], s[8:9], -v[241:242]
	v_fma_f64 v[245:246], v[237:238], s[2:3], -v[254:255]
	v_add_f64 v[164:165], v[205:206], v[164:165]
	v_mul_f64 v[205:206], v[157:158], s[52:53]
	v_add_f64 v[168:169], v[168:169], v[217:218]
	v_fma_f64 v[217:218], v[233:234], s[18:19], v[219:220]
	v_mul_f64 v[219:220], v[211:212], s[56:57]
	v_add_f64 v[16:17], v[16:17], v[18:19]
	v_mul_f64 v[18:19], v[40:41], s[42:43]
	v_mov_b32_e32 v43, v27
	v_add_f64 v[6:7], v[6:7], v[164:165]
	v_fma_f64 v[164:165], v[193:194], s[28:29], v[205:206]
	v_add_f64 v[168:169], v[170:171], v[168:169]
	v_fma_f64 v[170:171], v[231:232], s[30:31], v[225:226]
	v_mul_f64 v[225:226], v[221:222], s[52:53]
	v_mov_b32_e32 v42, v26
	v_mov_b32_e32 v41, v25
	;; [unrolled: 1-line block ×3, first 2 shown]
	v_fma_f64 v[24:25], v[235:236], s[8:9], -v[219:220]
	v_add_f64 v[16:17], v[245:246], v[16:17]
	v_add_f64 v[6:7], v[217:218], v[6:7]
	;; [unrolled: 1-line block ×3, first 2 shown]
	v_fma_f64 v[168:169], v[233:234], s[28:29], -v[225:226]
	v_mul_f64 v[26:27], v[162:163], s[38:39]
	v_fma_f64 v[217:218], v[191:192], s[34:35], v[18:19]
	v_fma_f64 v[187:188], v[197:198], s[2:3], -v[187:188]
	v_fma_f64 v[18:19], v[191:192], s[34:35], -v[18:19]
	v_add_f64 v[16:17], v[24:25], v[16:17]
	v_add_f64 v[6:7], v[170:171], v[6:7]
	;; [unrolled: 1-line block ×3, first 2 shown]
	v_fma_f64 v[4:5], v[199:200], s[30:31], -v[209:210]
	v_fma_f64 v[24:25], v[229:230], s[8:9], v[241:242]
	v_fma_f64 v[241:242], v[185:186], s[18:19], v[26:27]
	v_add_f64 v[217:218], v[217:218], v[164:165]
	v_add_f64 v[164:165], v[12:13], v[148:149]
	;; [unrolled: 1-line block ×3, first 2 shown]
	v_fma_f64 v[148:149], v[213:214], s[30:31], v[251:252]
	v_fma_f64 v[207:208], v[199:200], s[20:21], v[189:190]
	v_add_f64 v[4:5], v[4:5], v[10:11]
	v_add_f64 v[168:169], v[24:25], v[6:7]
	v_fma_f64 v[24:25], v[185:186], s[18:19], -v[26:27]
	v_fma_f64 v[26:27], v[215:216], s[20:21], v[239:240]
	v_fma_f64 v[10:11], v[193:194], s[28:29], -v[205:206]
	v_add_f64 v[16:17], v[28:29], v[16:17]
	v_fma_f64 v[28:29], v[201:202], s[10:11], -v[243:244]
	v_fma_f64 v[205:206], v[203:204], s[18:19], v[14:15]
	v_fma_f64 v[14:15], v[203:204], s[18:19], -v[14:15]
	v_fma_f64 v[8:9], v[231:232], s[34:35], v[8:9]
	v_mul_f64 v[245:246], v[174:175], s[38:39]
	v_add_f64 v[26:27], v[92:93], v[26:27]
	v_add_f64 v[6:7], v[241:242], v[217:218]
	;; [unrolled: 1-line block ×3, first 2 shown]
	v_fma_f64 v[28:29], v[223:224], s[10:11], v[249:250]
	v_add_f64 v[205:206], v[94:95], v[205:206]
	v_add_f64 v[14:15], v[94:95], v[14:15]
	v_fma_f64 v[12:13], v[229:230], s[18:19], -v[245:246]
	v_add_f64 v[26:27], v[148:149], v[26:27]
	v_mul_f64 v[148:149], v[178:179], s[48:49]
	v_add_f64 v[4:5], v[187:188], v[4:5]
	v_fma_f64 v[187:188], v[237:238], s[2:3], v[254:255]
	buffer_load_dword v255, off, s[60:63], 0 offset:64 ; 4-byte Folded Reload
	buffer_load_dword v254, off, s[60:63], 0 offset:48 ; 4-byte Folded Reload
	v_add_f64 v[106:107], v[207:208], v[205:206]
	v_add_f64 v[26:27], v[28:29], v[26:27]
	v_mul_f64 v[28:29], v[172:173], s[40:41]
	v_fma_f64 v[104:105], v[201:202], s[34:35], v[148:149]
	v_add_f64 v[4:5], v[30:31], v[4:5]
	v_fma_f64 v[30:31], v[235:236], s[8:9], v[219:220]
	v_add_f64 v[26:27], v[187:188], v[26:27]
	buffer_load_dword v187, off, s[60:63], 0 offset:192 ; 4-byte Folded Reload
	v_fma_f64 v[102:103], v[197:198], s[30:31], v[28:29]
	v_add_f64 v[4:5], v[10:11], v[4:5]
	v_add_f64 v[104:105], v[104:105], v[106:107]
	v_fma_f64 v[106:107], v[195:196], s[28:29], v[100:101]
	v_fma_f64 v[28:29], v[197:198], s[30:31], -v[28:29]
	v_fma_f64 v[10:11], v[233:234], s[28:29], v[225:226]
	v_add_f64 v[26:27], v[30:31], v[26:27]
	v_mul_f64 v[30:31], v[157:158], s[24:25]
	v_fma_f64 v[100:101], v[195:196], s[28:29], -v[100:101]
	v_add_f64 v[4:5], v[18:19], v[4:5]
	v_add_f64 v[18:19], v[98:99], v[110:111]
	;; [unrolled: 1-line block ×3, first 2 shown]
	buffer_load_dword v108, off, s[60:63], 0 offset:372 ; 4-byte Folded Reload
	buffer_load_dword v109, off, s[60:63], 0 offset:376 ; 4-byte Folded Reload
	v_add_f64 v[102:103], v[102:103], v[104:105]
	v_mul_f64 v[110:111], v[221:222], s[24:25]
	v_fma_f64 v[104:105], v[193:194], s[10:11], v[30:31]
	v_add_f64 v[10:11], v[10:11], v[26:27]
	v_add_f64 v[96:97], v[24:25], v[4:5]
	;; [unrolled: 1-line block ×4, first 2 shown]
	v_mul_f64 v[128:129], v[180:181], s[48:49]
	v_fma_f64 v[130:131], v[199:200], s[20:21], -v[189:190]
	v_add_f64 v[102:103], v[106:107], v[102:103]
	v_mul_f64 v[26:27], v[155:156], s[22:23]
	v_fma_f64 v[30:31], v[193:194], s[10:11], -v[30:31]
	v_add_f64 v[106:107], v[8:9], v[10:11]
	v_add_f64 v[18:19], v[18:19], v[118:119]
	v_add_f64 v[24:25], v[24:25], v[116:117]
	v_mul_f64 v[116:117], v[182:183], s[44:45]
	v_add_f64 v[14:15], v[130:131], v[14:15]
	v_add_f64 v[98:99], v[104:105], v[102:103]
	v_mul_f64 v[104:105], v[176:177], s[22:23]
	v_mul_f64 v[8:9], v[162:163], s[16:17]
	v_fma_f64 v[10:11], v[191:192], s[8:9], v[26:27]
	v_add_f64 v[18:19], v[18:19], v[134:135]
	v_add_f64 v[24:25], v[24:25], v[132:133]
	v_fma_f64 v[94:95], v[213:214], s[20:21], v[116:117]
	v_fma_f64 v[116:117], v[213:214], s[20:21], -v[116:117]
	v_mul_f64 v[102:103], v[174:175], s[16:17]
	v_fma_f64 v[26:27], v[191:192], s[8:9], -v[26:27]
	v_fma_f64 v[4:5], v[229:230], s[18:19], v[245:246]
	v_mov_b32_e32 v188, v161
	v_add_f64 v[18:19], v[18:19], v[122:123]
	v_add_f64 v[24:25], v[24:25], v[120:121]
	v_fma_f64 v[120:121], v[223:224], s[34:35], v[128:129]
	v_add_f64 v[18:19], v[18:19], v[138:139]
	v_add_f64 v[24:25], v[24:25], v[136:137]
	;; [unrolled: 1-line block ×12, first 2 shown]
	s_waitcnt vmcnt(0)
	v_mul_f64 v[108:109], v[108:109], s[36:37]
	v_fma_f64 v[118:119], v[215:216], s[18:19], v[108:109]
	v_fma_f64 v[108:109], v[215:216], s[18:19], -v[108:109]
	v_add_f64 v[118:119], v[92:93], v[118:119]
	v_add_f64 v[92:93], v[92:93], v[108:109]
	v_fma_f64 v[108:109], v[201:202], s[34:35], -v[148:149]
	buffer_load_dword v149, off, s[60:63], 0 offset:160 ; 4-byte Folded Reload
	buffer_load_dword v148, off, s[60:63], 0 offset:152 ; 4-byte Folded Reload
	;; [unrolled: 1-line block ×6, first 2 shown]
	v_add_f64 v[94:95], v[94:95], v[118:119]
	v_fma_f64 v[118:119], v[223:224], s[34:35], -v[128:129]
	v_add_f64 v[14:15], v[108:109], v[14:15]
	v_fma_f64 v[108:109], v[237:238], s[30:31], v[114:115]
	v_add_f64 v[92:93], v[116:117], v[92:93]
	v_fma_f64 v[114:115], v[237:238], s[30:31], -v[114:115]
	v_add_f64 v[94:95], v[120:121], v[94:95]
	v_add_f64 v[14:15], v[28:29], v[14:15]
	v_fma_f64 v[28:29], v[235:236], s[28:29], v[112:113]
	v_add_f64 v[92:93], v[118:119], v[92:93]
	v_add_f64 v[94:95], v[108:109], v[94:95]
	v_fma_f64 v[108:109], v[235:236], s[28:29], -v[112:113]
	v_add_f64 v[14:15], v[100:101], v[14:15]
	v_fma_f64 v[100:101], v[233:234], s[10:11], v[110:111]
	v_add_f64 v[92:93], v[114:115], v[92:93]
	v_add_f64 v[28:29], v[28:29], v[94:95]
	v_fma_f64 v[94:95], v[233:234], s[10:11], -v[110:111]
	;; [unrolled: 5-line block ×4, first 2 shown]
	v_fma_f64 v[102:103], v[229:230], s[2:3], -v[102:103]
	v_add_f64 v[28:29], v[30:31], v[28:29]
	v_fma_f64 v[30:31], v[185:186], s[2:3], v[8:9]
	buffer_load_dword v186, off, s[60:63], 0 offset:184 ; 4-byte Folded Reload
	buffer_load_dword v185, off, s[60:63], 0 offset:176 ; 4-byte Folded Reload
	;; [unrolled: 1-line block ×6, first 2 shown]
	v_add_f64 v[92:93], v[100:101], v[92:93]
	v_add_f64 v[10:11], v[94:95], v[14:15]
	;; [unrolled: 1-line block ×5, first 2 shown]
	v_mov_b32_e32 v31, v3
	v_mov_b32_e32 v30, v2
	v_mov_b32_e32 v29, v1
	v_mov_b32_e32 v28, v0
	buffer_load_dword v0, off, s[60:63], 0 offset:224 ; 4-byte Folded Reload
	v_add_f64 v[4:5], v[12:13], v[16:17]
	v_mul_lo_u16_e32 v12, 17, v184
	v_add_f64 v[102:103], v[102:103], v[92:93]
	s_waitcnt vmcnt(1)
	v_add_f64 v[100:101], v[18:19], v[38:39]
	v_add_f64 v[98:99], v[24:25], v[36:37]
	v_mov_b32_e32 v24, v40
	v_mov_b32_e32 v25, v41
	;; [unrolled: 1-line block ×4, first 2 shown]
	s_waitcnt vmcnt(0)
	v_lshl_add_u32 v12, v12, 4, v0
	ds_write_b128 v12, v[98:101]
	ds_write_b128 v12, v[8:11] offset:16
	ds_write_b128 v12, v[94:97] offset:32
	;; [unrolled: 1-line block ×4, first 2 shown]
	buffer_load_dword v154, off, s[60:63], 0 offset:212 ; 4-byte Folded Reload
	buffer_load_dword v153, off, s[60:63], 0 offset:208 ; 4-byte Folded Reload
	;; [unrolled: 1-line block ×8, first 2 shown]
	s_waitcnt vmcnt(0)
	ds_write_b128 v12, v[0:3] offset:80
	buffer_load_dword v176, off, s[60:63], 0 offset:120 ; 4-byte Folded Reload
	buffer_load_dword v177, off, s[60:63], 0 offset:124 ; 4-byte Folded Reload
	;; [unrolled: 1-line block ×8, first 2 shown]
	s_waitcnt vmcnt(0)
	ds_write_b128 v12, v[0:3] offset:96
	buffer_load_dword v156, off, s[60:63], 0 offset:220 ; 4-byte Folded Reload
	buffer_load_dword v155, off, s[60:63], 0 offset:216 ; 4-byte Folded Reload
	;; [unrolled: 1-line block ×6, first 2 shown]
	s_waitcnt vmcnt(0)
	ds_write_b128 v12, v[0:3] offset:112
	buffer_load_dword v0, off, s[60:63], 0 offset:244 ; 4-byte Folded Reload
	buffer_load_dword v1, off, s[60:63], 0 offset:248 ; 4-byte Folded Reload
	buffer_load_dword v2, off, s[60:63], 0 offset:252 ; 4-byte Folded Reload
	buffer_load_dword v3, off, s[60:63], 0 offset:256 ; 4-byte Folded Reload
	s_waitcnt vmcnt(0)
	ds_write_b128 v12, v[0:3] offset:128
	buffer_load_dword v0, off, s[60:63], 0 offset:228 ; 4-byte Folded Reload
	buffer_load_dword v1, off, s[60:63], 0 offset:232 ; 4-byte Folded Reload
	buffer_load_dword v2, off, s[60:63], 0 offset:236 ; 4-byte Folded Reload
	buffer_load_dword v3, off, s[60:63], 0 offset:240 ; 4-byte Folded Reload
	;; [unrolled: 6-line block ×6, first 2 shown]
	buffer_load_dword v40, off, s[60:63], 0 offset:88 ; 4-byte Folded Reload
	buffer_load_dword v41, off, s[60:63], 0 offset:92 ; 4-byte Folded Reload
	;; [unrolled: 1-line block ×8, first 2 shown]
	s_waitcnt vmcnt(0)
	ds_write_b128 v12, v[0:3] offset:208
	buffer_load_dword v180, off, s[60:63], 0 offset:136 ; 4-byte Folded Reload
	buffer_load_dword v181, off, s[60:63], 0 offset:140 ; 4-byte Folded Reload
	;; [unrolled: 1-line block ×4, first 2 shown]
	ds_write_b128 v12, v[164:167] offset:224
	buffer_load_dword v165, off, s[60:63], 0 offset:168 ; 4-byte Folded Reload
	buffer_load_dword v166, off, s[60:63], 0 offset:56 ; 4-byte Folded Reload
	;; [unrolled: 1-line block ×3, first 2 shown]
	ds_write_b128 v12, v[4:7] offset:240
	ds_write_b128 v12, v[102:105] offset:256
.LBB0_13:
	s_or_b64 exec, exec, s[0:1]
	s_waitcnt vmcnt(0) lgkmcnt(0)
	s_barrier
	ds_read_b128 v[0:3], v150 offset:3808
	ds_read_b128 v[4:7], v150
	ds_read_b128 v[8:11], v150 offset:544
	ds_read_b128 v[92:95], v150 offset:4352
	ds_read_b128 v[96:99], v150 offset:4896
	ds_read_b128 v[100:103], v150 offset:1088
	ds_read_b128 v[104:107], v150 offset:1632
	ds_read_b128 v[108:111], v150 offset:5440
	ds_read_b128 v[112:115], v150 offset:5984
	ds_read_b128 v[116:119], v150 offset:3264
	s_waitcnt lgkmcnt(9)
	v_mul_f64 v[12:13], v[30:31], v[2:3]
	v_mul_f64 v[14:15], v[30:31], v[0:1]
	s_waitcnt lgkmcnt(6)
	v_mul_f64 v[16:17], v[26:27], v[94:95]
	v_mul_f64 v[18:19], v[26:27], v[92:93]
	s_waitcnt lgkmcnt(2)
	v_mul_f64 v[26:27], v[34:35], v[108:109]
	ds_read_b128 v[120:123], v150 offset:2176
	ds_read_b128 v[124:127], v150 offset:2720
	;; [unrolled: 1-line block ×4, first 2 shown]
	s_waitcnt lgkmcnt(5)
	v_mul_f64 v[30:31], v[178:179], v[112:113]
	s_waitcnt lgkmcnt(0)
	v_fma_f64 v[0:1], v[28:29], v[0:1], v[12:13]
	v_fma_f64 v[2:3], v[28:29], v[2:3], -v[14:15]
	v_fma_f64 v[12:13], v[24:25], v[92:93], v[16:17]
	v_fma_f64 v[14:15], v[24:25], v[94:95], -v[18:19]
	v_mul_f64 v[24:25], v[34:35], v[110:111]
	v_mul_f64 v[16:17], v[42:43], v[98:99]
	;; [unrolled: 1-line block ×6, first 2 shown]
	v_fma_f64 v[94:95], v[32:33], v[110:111], -v[26:27]
	v_mul_f64 v[26:27], v[174:175], v[132:133]
	v_fma_f64 v[92:93], v[32:33], v[108:109], v[24:25]
	v_mul_f64 v[24:25], v[174:175], v[134:135]
	v_fma_f64 v[16:17], v[40:41], v[96:97], v[16:17]
	v_fma_f64 v[18:19], v[40:41], v[98:99], -v[18:19]
	v_fma_f64 v[96:97], v[176:177], v[112:113], v[28:29]
	v_fma_f64 v[36:37], v[176:177], v[114:115], -v[30:31]
	;; [unrolled: 2-line block ×3, first 2 shown]
	v_add_f64 v[0:1], v[4:5], -v[0:1]
	v_add_f64 v[2:3], v[6:7], -v[2:3]
	v_fma_f64 v[42:43], v[172:173], v[132:133], v[24:25]
	v_fma_f64 v[98:99], v[172:173], v[134:135], -v[26:27]
	v_add_f64 v[12:13], v[8:9], -v[12:13]
	v_add_f64 v[14:15], v[10:11], -v[14:15]
	v_add_f64 v[16:17], v[100:101], -v[16:17]
	v_add_f64 v[18:19], v[102:103], -v[18:19]
	v_add_f64 v[28:29], v[104:105], -v[92:93]
	v_add_f64 v[30:31], v[106:107], -v[94:95]
	v_add_f64 v[32:33], v[120:121], -v[96:97]
	v_add_f64 v[34:35], v[122:123], -v[36:37]
	v_fma_f64 v[4:5], v[4:5], 2.0, -v[0:1]
	v_fma_f64 v[6:7], v[6:7], 2.0, -v[2:3]
	v_add_f64 v[36:37], v[124:125], -v[38:39]
	v_add_f64 v[38:39], v[126:127], -v[40:41]
	v_add_f64 v[40:41], v[116:117], -v[42:43]
	v_add_f64 v[42:43], v[118:119], -v[98:99]
	v_fma_f64 v[8:9], v[8:9], 2.0, -v[12:13]
	v_fma_f64 v[10:11], v[10:11], 2.0, -v[14:15]
	;; [unrolled: 1-line block ×12, first 2 shown]
	s_barrier
	ds_write_b128 v148, v[4:7]
	ds_write_b128 v148, v[0:3] offset:272
	ds_write_b128 v149, v[8:11]
	ds_write_b128 v149, v[12:15] offset:272
	;; [unrolled: 2-line block ×7, first 2 shown]
	s_waitcnt lgkmcnt(0)
	s_barrier
	ds_read_b128 v[0:3], v150
	ds_read_b128 v[4:7], v150 offset:544
	ds_read_b128 v[8:11], v150 offset:1088
	;; [unrolled: 1-line block ×11, first 2 shown]
	s_waitcnt lgkmcnt(9)
	v_mul_f64 v[108:109], v[58:59], v[10:11]
	s_waitcnt lgkmcnt(7)
	v_mul_f64 v[112:113], v[54:55], v[18:19]
	v_mul_f64 v[114:115], v[54:55], v[16:17]
	s_waitcnt lgkmcnt(5)
	v_mul_f64 v[116:117], v[50:51], v[30:31]
	v_mul_f64 v[118:119], v[50:51], v[28:29]
	ds_read_b128 v[100:103], v150 offset:6528
	ds_read_b128 v[104:107], v150 offset:7072
	v_mul_f64 v[110:111], v[58:59], v[8:9]
	v_mul_f64 v[120:121], v[58:59], v[14:15]
	v_fma_f64 v[8:9], v[56:57], v[8:9], v[108:109]
	v_fma_f64 v[16:17], v[52:53], v[16:17], v[112:113]
	v_fma_f64 v[18:19], v[52:53], v[18:19], -v[114:115]
	v_fma_f64 v[28:29], v[48:49], v[28:29], v[116:117]
	v_fma_f64 v[30:31], v[48:49], v[30:31], -v[118:119]
	s_waitcnt lgkmcnt(5)
	v_mul_f64 v[108:109], v[46:47], v[38:39]
	s_waitcnt lgkmcnt(3)
	v_mul_f64 v[112:113], v[62:63], v[94:95]
	v_mul_f64 v[114:115], v[62:63], v[92:93]
	s_waitcnt lgkmcnt(1)
	v_mul_f64 v[116:117], v[22:23], v[102:103]
	v_mul_f64 v[118:119], v[22:23], v[100:101]
	;; [unrolled: 1-line block ×3, first 2 shown]
	v_fma_f64 v[10:11], v[56:57], v[10:11], -v[110:111]
	v_mul_f64 v[110:111], v[46:47], v[36:37]
	v_fma_f64 v[36:37], v[44:45], v[36:37], v[108:109]
	v_fma_f64 v[92:93], v[60:61], v[92:93], v[112:113]
	v_fma_f64 v[94:95], v[60:61], v[94:95], -v[114:115]
	v_fma_f64 v[100:101], v[20:21], v[100:101], v[116:117]
	v_fma_f64 v[102:103], v[20:21], v[102:103], -v[118:119]
	;; [unrolled: 2-line block ×3, first 2 shown]
	v_mul_f64 v[12:13], v[54:55], v[26:27]
	v_mul_f64 v[14:15], v[54:55], v[24:25]
	;; [unrolled: 1-line block ×4, first 2 shown]
	v_fma_f64 v[38:39], v[44:45], v[38:39], -v[110:111]
	v_mul_f64 v[58:59], v[46:47], v[42:43]
	v_mul_f64 v[46:47], v[46:47], v[40:41]
	;; [unrolled: 1-line block ×3, first 2 shown]
	v_fma_f64 v[112:113], v[52:53], v[24:25], v[12:13]
	v_fma_f64 v[52:53], v[52:53], v[26:27], -v[14:15]
	v_fma_f64 v[32:33], v[48:49], v[32:33], v[54:55]
	v_fma_f64 v[34:35], v[48:49], v[34:35], -v[50:51]
	s_waitcnt lgkmcnt(0)
	v_mul_f64 v[12:13], v[22:23], v[106:107]
	v_mul_f64 v[14:15], v[22:23], v[104:105]
	v_add_f64 v[22:23], v[8:9], v[100:101]
	v_add_f64 v[24:25], v[10:11], v[102:103]
	v_add_f64 v[26:27], v[16:17], v[92:93]
	v_add_f64 v[48:49], v[18:19], v[94:95]
	v_mul_f64 v[62:63], v[62:63], v[96:97]
	v_add_f64 v[8:9], v[8:9], -v[100:101]
	v_add_f64 v[10:11], v[10:11], -v[102:103]
	;; [unrolled: 1-line block ×4, first 2 shown]
	v_add_f64 v[50:51], v[28:29], v[36:37]
	v_add_f64 v[54:55], v[30:31], v[38:39]
	v_add_f64 v[28:29], v[36:37], -v[28:29]
	v_add_f64 v[30:31], v[38:39], -v[30:31]
	v_add_f64 v[36:37], v[26:27], v[22:23]
	v_add_f64 v[38:39], v[48:49], v[24:25]
	v_fma_f64 v[40:41], v[44:45], v[40:41], v[58:59]
	v_fma_f64 v[42:43], v[44:45], v[42:43], -v[46:47]
	v_fma_f64 v[44:45], v[60:61], v[96:97], v[110:111]
	v_fma_f64 v[46:47], v[60:61], v[98:99], -v[62:63]
	v_add_f64 v[58:59], v[26:27], -v[22:23]
	v_add_f64 v[60:61], v[48:49], -v[24:25]
	;; [unrolled: 1-line block ×6, first 2 shown]
	v_add_f64 v[62:63], v[28:29], v[16:17]
	v_add_f64 v[92:93], v[30:31], v[18:19]
	v_add_f64 v[94:95], v[28:29], -v[16:17]
	v_add_f64 v[96:97], v[30:31], -v[18:19]
	v_add_f64 v[36:37], v[50:51], v[36:37]
	v_add_f64 v[38:39], v[54:55], v[38:39]
	v_add_f64 v[16:17], v[16:17], -v[8:9]
	v_add_f64 v[18:19], v[18:19], -v[10:11]
	s_mov_b32 s2, 0x37e14327
	s_mov_b32 s0, 0x36b3c0b5
	;; [unrolled: 1-line block ×8, first 2 shown]
	v_add_f64 v[28:29], v[8:9], -v[28:29]
	v_add_f64 v[30:31], v[10:11], -v[30:31]
	v_add_f64 v[8:9], v[62:63], v[8:9]
	v_add_f64 v[10:11], v[92:93], v[10:11]
	;; [unrolled: 1-line block ×4, first 2 shown]
	v_mul_f64 v[22:23], v[22:23], s[2:3]
	v_mul_f64 v[24:25], v[24:25], s[2:3]
	;; [unrolled: 1-line block ×8, first 2 shown]
	s_mov_b32 s16, 0xaaaaaaaa
	s_mov_b32 s18, 0x5476071b
	;; [unrolled: 1-line block ×10, first 2 shown]
	v_fma_f64 v[36:37], v[36:37], s[16:17], v[0:1]
	v_fma_f64 v[38:39], v[38:39], s[16:17], v[2:3]
	;; [unrolled: 1-line block ×4, first 2 shown]
	v_fma_f64 v[50:51], v[58:59], s[18:19], -v[50:51]
	v_fma_f64 v[54:55], v[60:61], s[18:19], -v[54:55]
	;; [unrolled: 1-line block ×4, first 2 shown]
	v_fma_f64 v[58:59], v[28:29], s[22:23], v[62:63]
	v_fma_f64 v[60:61], v[30:31], s[22:23], v[92:93]
	v_fma_f64 v[16:17], v[16:17], s[8:9], -v[62:63]
	v_fma_f64 v[18:19], v[18:19], s[8:9], -v[92:93]
	v_fma_f64 v[28:29], v[28:29], s[26:27], -v[94:95]
	v_fma_f64 v[30:31], v[30:31], s[26:27], -v[96:97]
	s_mov_b32 s24, 0x37c3f68c
	s_mov_b32 s25, 0xbfdc38aa
	v_add_f64 v[62:63], v[26:27], v[36:37]
	v_add_f64 v[48:49], v[48:49], v[38:39]
	;; [unrolled: 1-line block ×6, first 2 shown]
	v_fma_f64 v[54:55], v[10:11], s[24:25], v[60:61]
	v_fma_f64 v[24:25], v[10:11], s[24:25], v[30:31]
	;; [unrolled: 1-line block ×6, first 2 shown]
	v_fma_f64 v[92:93], v[20:21], v[106:107], -v[14:15]
	v_fma_f64 v[58:59], v[8:9], s[24:25], v[58:59]
	v_add_f64 v[8:9], v[54:55], v[62:63]
	v_add_f64 v[12:13], v[24:25], v[36:37]
	v_add_f64 v[14:15], v[38:39], -v[28:29]
	v_add_f64 v[16:17], v[26:27], -v[22:23]
	v_add_f64 v[18:19], v[30:31], v[50:51]
	v_add_f64 v[20:21], v[22:23], v[26:27]
	v_add_f64 v[22:23], v[50:51], -v[30:31]
	v_add_f64 v[26:27], v[28:29], v[38:39]
	v_add_f64 v[28:29], v[108:109], v[60:61]
	;; [unrolled: 1-line block ×3, first 2 shown]
	v_add_f64 v[38:39], v[56:57], -v[92:93]
	v_add_f64 v[50:51], v[112:113], v[44:45]
	v_add_f64 v[56:57], v[52:53], v[46:47]
	v_add_f64 v[24:25], v[36:37], -v[24:25]
	v_add_f64 v[36:37], v[108:109], -v[60:61]
	v_add_f64 v[44:45], v[112:113], -v[44:45]
	v_add_f64 v[46:47], v[52:53], -v[46:47]
	v_add_f64 v[52:53], v[32:33], v[40:41]
	v_add_f64 v[60:61], v[34:35], v[42:43]
	v_add_f64 v[32:33], v[40:41], -v[32:33]
	v_add_f64 v[34:35], v[42:43], -v[34:35]
	v_add_f64 v[40:41], v[50:51], v[28:29]
	v_add_f64 v[42:43], v[56:57], v[30:31]
	v_add_f64 v[92:93], v[50:51], -v[28:29]
	v_add_f64 v[94:95], v[56:57], -v[30:31]
	;; [unrolled: 1-line block ×6, first 2 shown]
	v_add_f64 v[96:97], v[32:33], v[44:45]
	v_add_f64 v[98:99], v[34:35], v[46:47]
	v_add_f64 v[100:101], v[32:33], -v[44:45]
	v_add_f64 v[102:103], v[34:35], -v[46:47]
	v_add_f64 v[40:41], v[52:53], v[40:41]
	v_add_f64 v[42:43], v[60:61], v[42:43]
	v_add_f64 v[44:45], v[44:45], -v[36:37]
	v_add_f64 v[46:47], v[46:47], -v[38:39]
	;; [unrolled: 1-line block ×4, first 2 shown]
	v_add_f64 v[36:37], v[96:97], v[36:37]
	v_add_f64 v[38:39], v[98:99], v[38:39]
	v_add_f64 v[4:5], v[4:5], v[40:41]
	v_add_f64 v[6:7], v[6:7], v[42:43]
	v_mul_f64 v[28:29], v[28:29], s[2:3]
	v_mul_f64 v[30:31], v[30:31], s[2:3]
	;; [unrolled: 1-line block ×8, first 2 shown]
	v_fma_f64 v[40:41], v[40:41], s[16:17], v[4:5]
	v_fma_f64 v[42:43], v[42:43], s[16:17], v[6:7]
	;; [unrolled: 1-line block ×4, first 2 shown]
	v_fma_f64 v[52:53], v[92:93], s[18:19], -v[52:53]
	v_fma_f64 v[60:61], v[94:95], s[18:19], -v[60:61]
	;; [unrolled: 1-line block ×4, first 2 shown]
	v_fma_f64 v[92:93], v[32:33], s[22:23], v[96:97]
	v_fma_f64 v[94:95], v[34:35], s[22:23], v[98:99]
	v_fma_f64 v[32:33], v[32:33], s[26:27], -v[100:101]
	v_fma_f64 v[34:35], v[34:35], s[26:27], -v[102:103]
	;; [unrolled: 1-line block ×4, first 2 shown]
	v_add_f64 v[96:97], v[50:51], v[40:41]
	v_add_f64 v[56:57], v[56:57], v[42:43]
	;; [unrolled: 1-line block ×6, first 2 shown]
	v_fma_f64 v[94:95], v[38:39], s[24:25], v[94:95]
	v_fma_f64 v[92:93], v[36:37], s[24:25], v[92:93]
	;; [unrolled: 1-line block ×6, first 2 shown]
	v_add_f64 v[10:11], v[48:49], -v[58:59]
	v_add_f64 v[28:29], v[62:63], -v[54:55]
	v_add_f64 v[30:31], v[58:59], v[48:49]
	v_add_f64 v[32:33], v[94:95], v[96:97]
	v_add_f64 v[34:35], v[56:57], -v[92:93]
	v_add_f64 v[36:37], v[100:101], v[60:61]
	v_add_f64 v[38:39], v[98:99], -v[102:103]
	v_add_f64 v[40:41], v[50:51], -v[46:47]
	v_add_f64 v[42:43], v[104:105], v[52:53]
	v_add_f64 v[44:45], v[46:47], v[50:51]
	v_add_f64 v[46:47], v[52:53], -v[104:105]
	v_add_f64 v[48:49], v[60:61], -v[100:101]
	v_add_f64 v[50:51], v[102:103], v[98:99]
	v_add_f64 v[52:53], v[96:97], -v[94:95]
	v_add_f64 v[54:55], v[92:93], v[56:57]
	s_barrier
	ds_write_b128 v150, v[0:3]
	ds_write_b128 v150, v[8:11] offset:544
	ds_write_b128 v150, v[12:15] offset:1088
	;; [unrolled: 1-line block ×13, first 2 shown]
	s_waitcnt lgkmcnt(0)
	s_barrier
	ds_read_b128 v[0:3], v150 offset:3808
	ds_read_b128 v[4:7], v150
	ds_read_b128 v[8:11], v150 offset:544
	ds_read_b128 v[12:15], v150 offset:4352
	;; [unrolled: 1-line block ×8, first 2 shown]
	s_waitcnt lgkmcnt(9)
	v_mul_f64 v[56:57], v[66:67], v[2:3]
	v_mul_f64 v[58:59], v[66:67], v[0:1]
	s_waitcnt lgkmcnt(6)
	v_mul_f64 v[60:61], v[70:71], v[14:15]
	v_mul_f64 v[62:63], v[70:71], v[12:13]
	ds_read_b128 v[40:43], v150 offset:2176
	ds_read_b128 v[44:47], v150 offset:2720
	;; [unrolled: 1-line block ×4, first 2 shown]
	s_waitcnt lgkmcnt(5)
	v_mul_f64 v[66:67], v[86:87], v[32:33]
	v_fma_f64 v[0:1], v[64:65], v[0:1], v[56:57]
	v_fma_f64 v[2:3], v[64:65], v[2:3], -v[58:59]
	v_mul_f64 v[56:57], v[74:75], v[18:19]
	v_mul_f64 v[58:59], v[74:75], v[16:17]
	v_fma_f64 v[12:13], v[68:69], v[12:13], v[60:61]
	v_fma_f64 v[14:15], v[68:69], v[14:15], -v[62:63]
	v_mul_f64 v[60:61], v[78:79], v[30:31]
	v_mul_f64 v[62:63], v[78:79], v[28:29]
	;; [unrolled: 1-line block ×3, first 2 shown]
	s_waitcnt lgkmcnt(1)
	v_mul_f64 v[68:69], v[90:91], v[50:51]
	v_mul_f64 v[70:71], v[90:91], v[48:49]
	v_fma_f64 v[16:17], v[72:73], v[16:17], v[56:57]
	v_fma_f64 v[18:19], v[72:73], v[18:19], -v[58:59]
	s_waitcnt lgkmcnt(0)
	v_mul_f64 v[56:57], v[82:83], v[54:55]
	v_mul_f64 v[58:59], v[82:83], v[52:53]
	v_fma_f64 v[28:29], v[76:77], v[28:29], v[60:61]
	v_fma_f64 v[30:31], v[76:77], v[30:31], -v[62:63]
	v_fma_f64 v[32:33], v[84:85], v[32:33], v[64:65]
	v_fma_f64 v[34:35], v[84:85], v[34:35], -v[66:67]
	;; [unrolled: 2-line block ×3, first 2 shown]
	v_add_f64 v[0:1], v[4:5], -v[0:1]
	v_add_f64 v[2:3], v[6:7], -v[2:3]
	v_fma_f64 v[52:53], v[80:81], v[52:53], v[56:57]
	v_fma_f64 v[54:55], v[80:81], v[54:55], -v[58:59]
	v_add_f64 v[12:13], v[8:9], -v[12:13]
	v_add_f64 v[14:15], v[10:11], -v[14:15]
	;; [unrolled: 1-line block ×6, first 2 shown]
	v_fma_f64 v[4:5], v[4:5], 2.0, -v[0:1]
	v_fma_f64 v[6:7], v[6:7], 2.0, -v[2:3]
	v_add_f64 v[32:33], v[40:41], -v[32:33]
	v_add_f64 v[34:35], v[42:43], -v[34:35]
	;; [unrolled: 1-line block ×6, first 2 shown]
	v_fma_f64 v[8:9], v[8:9], 2.0, -v[12:13]
	v_fma_f64 v[10:11], v[10:11], 2.0, -v[14:15]
	;; [unrolled: 1-line block ×12, first 2 shown]
	ds_write_b128 v253, v[4:7]
	ds_write_b128 v253, v[0:3] offset:3808
	ds_write_b128 v253, v[8:11] offset:544
	ds_write_b128 v253, v[12:15] offset:4352
	ds_write_b128 v253, v[20:23] offset:1088
	ds_write_b128 v156, v[16:19] offset:3808
	ds_write_b128 v253, v[24:27] offset:1632
	ds_write_b128 v155, v[28:31] offset:3808
	ds_write_b128 v253, v[40:43] offset:2176
	ds_write_b128 v154, v[32:35] offset:3808
	ds_write_b128 v253, v[44:47] offset:2720
	ds_write_b128 v153, v[48:51] offset:3808
	ds_write_b128 v253, v[36:39] offset:3264
	ds_write_b128 v152, v[52:55] offset:3808
	s_waitcnt lgkmcnt(0)
	s_barrier
	s_and_b64 exec, exec, vcc
	s_cbranch_execz .LBB0_15
; %bb.14:
	global_load_dwordx4 v[3:6], v254, s[12:13]
	ds_read_b128 v[7:10], v253
	v_lshl_add_u32 v2, v255, 4, v151
	ds_read_b128 v[11:14], v2 offset:448
	v_mad_u64_u32 v[0:1], s[0:1], s6, v166, 0
	v_mad_u64_u32 v[15:16], s[0:1], s4, v184, 0
	;; [unrolled: 1-line block ×3, first 2 shown]
	s_mul_i32 s3, s5, 0x1c0
	s_mul_hi_u32 s6, s4, 0x1c0
	v_mov_b32_e32 v1, v19
	v_lshlrev_b64 v[0:1], 4, v[0:1]
	s_mul_i32 s2, s4, 0x1c0
	v_add_co_u32_e32 v0, vcc, s14, v0
	s_add_i32 s3, s6, s3
	s_mul_i32 s8, s5, 0x380
	s_movk_i32 s9, 0x1000
	s_waitcnt vmcnt(0) lgkmcnt(1)
	v_mul_f64 v[17:18], v[9:10], v[5:6]
	v_mul_f64 v[5:6], v[7:8], v[5:6]
	v_fma_f64 v[7:8], v[7:8], v[3:4], v[17:18]
	v_fma_f64 v[5:6], v[3:4], v[9:10], -v[5:6]
	v_mad_u64_u32 v[20:21], s[0:1], s5, v184, v[16:17]
	s_mov_b32 s0, 0x1135c811
	s_mov_b32 s1, 0x3f6135c8
	v_mov_b32_e32 v16, v20
	v_mov_b32_e32 v17, s15
	v_mul_f64 v[3:4], v[7:8], s[0:1]
	v_mul_f64 v[5:6], v[5:6], s[0:1]
	v_lshlrev_b64 v[9:10], 4, v[15:16]
	v_addc_co_u32_e32 v1, vcc, v17, v1, vcc
	v_add_co_u32_e32 v7, vcc, v0, v9
	v_addc_co_u32_e32 v8, vcc, v1, v10, vcc
	global_store_dwordx4 v[7:8], v[3:6], off
	global_load_dwordx4 v[3:6], v254, s[12:13] offset:448
	v_add_co_u32_e32 v15, vcc, s2, v7
	v_or_b32_e32 v21, 0xe0, v184
	v_mad_u64_u32 v[19:20], s[6:7], s4, v21, 0
	s_waitcnt vmcnt(0) lgkmcnt(0)
	v_mul_f64 v[9:10], v[13:14], v[5:6]
	v_mul_f64 v[5:6], v[11:12], v[5:6]
	v_fma_f64 v[9:10], v[11:12], v[3:4], v[9:10]
	v_fma_f64 v[5:6], v[3:4], v[13:14], -v[5:6]
	v_mul_f64 v[3:4], v[9:10], s[0:1]
	v_mul_f64 v[5:6], v[5:6], s[0:1]
	v_mov_b32_e32 v9, s3
	v_addc_co_u32_e32 v16, vcc, v8, v9, vcc
	global_store_dwordx4 v[15:16], v[3:6], off
	global_load_dwordx4 v[3:6], v254, s[12:13] offset:896
	ds_read_b128 v[7:10], v2 offset:896
	ds_read_b128 v[11:14], v2 offset:1344
	s_waitcnt vmcnt(0) lgkmcnt(1)
	v_mul_f64 v[17:18], v[9:10], v[5:6]
	v_mul_f64 v[5:6], v[7:8], v[5:6]
	v_fma_f64 v[7:8], v[7:8], v[3:4], v[17:18]
	v_fma_f64 v[5:6], v[3:4], v[9:10], -v[5:6]
	v_mul_f64 v[3:4], v[7:8], s[0:1]
	v_mul_f64 v[5:6], v[5:6], s[0:1]
	v_mov_b32_e32 v8, s3
	v_add_co_u32_e32 v7, vcc, s2, v15
	v_addc_co_u32_e32 v8, vcc, v16, v8, vcc
	v_add_co_u32_e32 v15, vcc, s2, v7
	global_store_dwordx4 v[7:8], v[3:6], off
	global_load_dwordx4 v[3:6], v254, s[12:13] offset:1344
	s_waitcnt vmcnt(0) lgkmcnt(0)
	v_mul_f64 v[9:10], v[13:14], v[5:6]
	v_mul_f64 v[5:6], v[11:12], v[5:6]
	v_fma_f64 v[9:10], v[11:12], v[3:4], v[9:10]
	v_fma_f64 v[5:6], v[3:4], v[13:14], -v[5:6]
	v_mul_f64 v[3:4], v[9:10], s[0:1]
	v_mul_f64 v[5:6], v[5:6], s[0:1]
	v_mov_b32_e32 v9, s3
	v_addc_co_u32_e32 v16, vcc, v8, v9, vcc
	global_store_dwordx4 v[15:16], v[3:6], off
	global_load_dwordx4 v[3:6], v254, s[12:13] offset:1792
	ds_read_b128 v[7:10], v2 offset:1792
	ds_read_b128 v[11:14], v2 offset:2240
	s_waitcnt vmcnt(0) lgkmcnt(1)
	v_mul_f64 v[17:18], v[9:10], v[5:6]
	v_mul_f64 v[5:6], v[7:8], v[5:6]
	v_fma_f64 v[7:8], v[7:8], v[3:4], v[17:18]
	v_fma_f64 v[5:6], v[3:4], v[9:10], -v[5:6]
	v_mul_f64 v[3:4], v[7:8], s[0:1]
	v_mul_f64 v[5:6], v[5:6], s[0:1]
	v_mov_b32_e32 v8, s3
	v_add_co_u32_e32 v7, vcc, s2, v15
	v_addc_co_u32_e32 v8, vcc, v16, v8, vcc
	v_add_co_u32_e32 v15, vcc, s2, v7
	global_store_dwordx4 v[7:8], v[3:6], off
	global_load_dwordx4 v[3:6], v254, s[12:13] offset:2240
	;; [unrolled: 26-line block ×3, first 2 shown]
	s_waitcnt vmcnt(0) lgkmcnt(0)
	v_mul_f64 v[9:10], v[13:14], v[5:6]
	v_mul_f64 v[5:6], v[11:12], v[5:6]
	v_fma_f64 v[9:10], v[11:12], v[3:4], v[9:10]
	v_fma_f64 v[5:6], v[3:4], v[13:14], -v[5:6]
	v_mul_f64 v[3:4], v[9:10], s[0:1]
	v_mul_f64 v[5:6], v[5:6], s[0:1]
	v_mov_b32_e32 v9, s3
	v_addc_co_u32_e32 v16, vcc, v8, v9, vcc
	global_store_dwordx4 v[15:16], v[3:6], off
	global_load_dwordx4 v[3:6], v254, s[12:13] offset:3584
	ds_read_b128 v[7:10], v2 offset:3584
	ds_read_b128 v[11:14], v2 offset:4032
	s_waitcnt vmcnt(0) lgkmcnt(1)
	v_mul_f64 v[17:18], v[9:10], v[5:6]
	v_mul_f64 v[5:6], v[7:8], v[5:6]
	v_fma_f64 v[7:8], v[7:8], v[3:4], v[17:18]
	v_fma_f64 v[5:6], v[3:4], v[9:10], -v[5:6]
	v_mov_b32_e32 v3, v20
	v_mad_u64_u32 v[9:10], s[6:7], s5, v21, v[3:4]
	v_mov_b32_e32 v10, 0x380
	v_mad_u64_u32 v[15:16], s[6:7], s4, v10, v[15:16]
	v_mul_f64 v[3:4], v[7:8], s[0:1]
	v_mul_f64 v[5:6], v[5:6], s[0:1]
	v_mov_b32_e32 v20, v9
	v_lshlrev_b64 v[7:8], 4, v[19:20]
	v_mov_b32_e32 v9, s13
	v_add_co_u32_e32 v7, vcc, v0, v7
	v_addc_co_u32_e32 v8, vcc, v1, v8, vcc
	global_store_dwordx4 v[7:8], v[3:6], off
	global_load_dwordx4 v[3:6], v254, s[12:13] offset:4032
	v_add_u32_e32 v16, s8, v16
	s_waitcnt vmcnt(0) lgkmcnt(0)
	v_mul_f64 v[7:8], v[13:14], v[5:6]
	v_mul_f64 v[5:6], v[11:12], v[5:6]
	v_fma_f64 v[7:8], v[11:12], v[3:4], v[7:8]
	v_fma_f64 v[5:6], v[3:4], v[13:14], -v[5:6]
	v_add_co_u32_e32 v11, vcc, s12, v254
	v_addc_co_u32_e32 v9, vcc, 0, v9, vcc
	v_add_co_u32_e32 v17, vcc, s9, v11
	v_mul_f64 v[3:4], v[7:8], s[0:1]
	v_mul_f64 v[5:6], v[5:6], s[0:1]
	v_addc_co_u32_e32 v18, vcc, 0, v9, vcc
	global_store_dwordx4 v[15:16], v[3:6], off
	global_load_dwordx4 v[3:6], v[17:18], off offset:384
	ds_read_b128 v[7:10], v2 offset:4480
	ds_read_b128 v[11:14], v2 offset:4928
	s_waitcnt vmcnt(0) lgkmcnt(1)
	v_mul_f64 v[19:20], v[9:10], v[5:6]
	v_mul_f64 v[5:6], v[7:8], v[5:6]
	v_fma_f64 v[7:8], v[7:8], v[3:4], v[19:20]
	v_fma_f64 v[5:6], v[3:4], v[9:10], -v[5:6]
	v_mul_f64 v[3:4], v[7:8], s[0:1]
	v_mul_f64 v[5:6], v[5:6], s[0:1]
	v_mov_b32_e32 v8, s3
	v_add_co_u32_e32 v7, vcc, s2, v15
	v_addc_co_u32_e32 v8, vcc, v16, v8, vcc
	v_add_co_u32_e32 v15, vcc, s2, v7
	global_store_dwordx4 v[7:8], v[3:6], off
	global_load_dwordx4 v[3:6], v[17:18], off offset:832
	s_waitcnt vmcnt(0) lgkmcnt(0)
	v_mul_f64 v[9:10], v[13:14], v[5:6]
	v_mul_f64 v[5:6], v[11:12], v[5:6]
	v_fma_f64 v[9:10], v[11:12], v[3:4], v[9:10]
	v_fma_f64 v[5:6], v[3:4], v[13:14], -v[5:6]
	v_mul_f64 v[3:4], v[9:10], s[0:1]
	v_mul_f64 v[5:6], v[5:6], s[0:1]
	v_mov_b32_e32 v9, s3
	v_addc_co_u32_e32 v16, vcc, v8, v9, vcc
	global_store_dwordx4 v[15:16], v[3:6], off
	global_load_dwordx4 v[3:6], v[17:18], off offset:1280
	ds_read_b128 v[7:10], v2 offset:5376
	ds_read_b128 v[11:14], v2 offset:5824
	s_waitcnt vmcnt(0) lgkmcnt(1)
	v_mul_f64 v[19:20], v[9:10], v[5:6]
	v_mul_f64 v[5:6], v[7:8], v[5:6]
	v_fma_f64 v[7:8], v[7:8], v[3:4], v[19:20]
	v_fma_f64 v[5:6], v[3:4], v[9:10], -v[5:6]
	v_mul_f64 v[3:4], v[7:8], s[0:1]
	v_mul_f64 v[5:6], v[5:6], s[0:1]
	v_mov_b32_e32 v8, s3
	v_add_co_u32_e32 v7, vcc, s2, v15
	v_addc_co_u32_e32 v8, vcc, v16, v8, vcc
	v_add_co_u32_e32 v15, vcc, s2, v7
	global_store_dwordx4 v[7:8], v[3:6], off
	global_load_dwordx4 v[3:6], v[17:18], off offset:1728
	s_waitcnt vmcnt(0) lgkmcnt(0)
	v_mul_f64 v[9:10], v[13:14], v[5:6]
	v_mul_f64 v[5:6], v[11:12], v[5:6]
	v_fma_f64 v[9:10], v[11:12], v[3:4], v[9:10]
	v_fma_f64 v[5:6], v[3:4], v[13:14], -v[5:6]
	v_mul_f64 v[3:4], v[9:10], s[0:1]
	v_mul_f64 v[5:6], v[5:6], s[0:1]
	v_mov_b32_e32 v9, s3
	v_addc_co_u32_e32 v16, vcc, v8, v9, vcc
	global_store_dwordx4 v[15:16], v[3:6], off
	global_load_dwordx4 v[3:6], v[17:18], off offset:2176
	ds_read_b128 v[7:10], v2 offset:6272
	ds_read_b128 v[11:14], v2 offset:6720
	s_waitcnt vmcnt(0) lgkmcnt(1)
	v_mul_f64 v[19:20], v[9:10], v[5:6]
	v_mul_f64 v[5:6], v[7:8], v[5:6]
	v_fma_f64 v[7:8], v[7:8], v[3:4], v[19:20]
	v_fma_f64 v[5:6], v[3:4], v[9:10], -v[5:6]
	v_mul_f64 v[3:4], v[7:8], s[0:1]
	v_mul_f64 v[5:6], v[5:6], s[0:1]
	v_mov_b32_e32 v8, s3
	v_add_co_u32_e32 v7, vcc, s2, v15
	v_addc_co_u32_e32 v8, vcc, v16, v8, vcc
	global_store_dwordx4 v[7:8], v[3:6], off
	global_load_dwordx4 v[3:6], v[17:18], off offset:2624
	v_add_co_u32_e32 v7, vcc, s2, v7
	s_waitcnt vmcnt(0) lgkmcnt(0)
	v_mul_f64 v[9:10], v[13:14], v[5:6]
	v_mul_f64 v[5:6], v[11:12], v[5:6]
	v_fma_f64 v[9:10], v[11:12], v[3:4], v[9:10]
	v_fma_f64 v[5:6], v[3:4], v[13:14], -v[5:6]
	v_or_b32_e32 v13, 0x1c0, v184
	v_mul_f64 v[3:4], v[9:10], s[0:1]
	v_mul_f64 v[5:6], v[5:6], s[0:1]
	v_mov_b32_e32 v10, s3
	v_addc_co_u32_e32 v8, vcc, v8, v10, vcc
	v_lshlrev_b32_e32 v9, 4, v13
	global_store_dwordx4 v[7:8], v[3:6], off
	global_load_dwordx4 v[3:6], v9, s[12:13]
	ds_read_b128 v[7:10], v2 offset:7168
	s_waitcnt vmcnt(0) lgkmcnt(0)
	v_mul_f64 v[11:12], v[9:10], v[5:6]
	v_mul_f64 v[5:6], v[7:8], v[5:6]
	v_fma_f64 v[7:8], v[7:8], v[3:4], v[11:12]
	v_fma_f64 v[4:5], v[3:4], v[9:10], -v[5:6]
	v_mad_u64_u32 v[9:10], s[2:3], s4, v13, 0
	v_mov_b32_e32 v2, v10
	v_mad_u64_u32 v[10:11], s[2:3], s5, v13, v[2:3]
	v_mul_f64 v[2:3], v[7:8], s[0:1]
	v_mul_f64 v[4:5], v[4:5], s[0:1]
	v_lshlrev_b64 v[6:7], 4, v[9:10]
	v_add_co_u32_e32 v0, vcc, v0, v6
	v_addc_co_u32_e32 v1, vcc, v1, v7, vcc
	global_store_dwordx4 v[0:1], v[2:5], off
.LBB0_15:
	s_endpgm
	.section	.rodata,"a",@progbits
	.p2align	6, 0x0
	.amdhsa_kernel bluestein_single_fwd_len476_dim1_dp_op_CI_CI
		.amdhsa_group_segment_fixed_size 22848
		.amdhsa_private_segment_fixed_size 384
		.amdhsa_kernarg_size 104
		.amdhsa_user_sgpr_count 6
		.amdhsa_user_sgpr_private_segment_buffer 1
		.amdhsa_user_sgpr_dispatch_ptr 0
		.amdhsa_user_sgpr_queue_ptr 0
		.amdhsa_user_sgpr_kernarg_segment_ptr 1
		.amdhsa_user_sgpr_dispatch_id 0
		.amdhsa_user_sgpr_flat_scratch_init 0
		.amdhsa_user_sgpr_private_segment_size 0
		.amdhsa_uses_dynamic_stack 0
		.amdhsa_system_sgpr_private_segment_wavefront_offset 1
		.amdhsa_system_sgpr_workgroup_id_x 1
		.amdhsa_system_sgpr_workgroup_id_y 0
		.amdhsa_system_sgpr_workgroup_id_z 0
		.amdhsa_system_sgpr_workgroup_info 0
		.amdhsa_system_vgpr_workitem_id 0
		.amdhsa_next_free_vgpr 256
		.amdhsa_next_free_sgpr 64
		.amdhsa_reserve_vcc 1
		.amdhsa_reserve_flat_scratch 0
		.amdhsa_float_round_mode_32 0
		.amdhsa_float_round_mode_16_64 0
		.amdhsa_float_denorm_mode_32 3
		.amdhsa_float_denorm_mode_16_64 3
		.amdhsa_dx10_clamp 1
		.amdhsa_ieee_mode 1
		.amdhsa_fp16_overflow 0
		.amdhsa_exception_fp_ieee_invalid_op 0
		.amdhsa_exception_fp_denorm_src 0
		.amdhsa_exception_fp_ieee_div_zero 0
		.amdhsa_exception_fp_ieee_overflow 0
		.amdhsa_exception_fp_ieee_underflow 0
		.amdhsa_exception_fp_ieee_inexact 0
		.amdhsa_exception_int_div_zero 0
	.end_amdhsa_kernel
	.text
.Lfunc_end0:
	.size	bluestein_single_fwd_len476_dim1_dp_op_CI_CI, .Lfunc_end0-bluestein_single_fwd_len476_dim1_dp_op_CI_CI
                                        ; -- End function
	.section	.AMDGPU.csdata,"",@progbits
; Kernel info:
; codeLenInByte = 27928
; NumSgprs: 68
; NumVgprs: 256
; ScratchSize: 384
; MemoryBound: 0
; FloatMode: 240
; IeeeMode: 1
; LDSByteSize: 22848 bytes/workgroup (compile time only)
; SGPRBlocks: 8
; VGPRBlocks: 63
; NumSGPRsForWavesPerEU: 68
; NumVGPRsForWavesPerEU: 256
; Occupancy: 1
; WaveLimiterHint : 1
; COMPUTE_PGM_RSRC2:SCRATCH_EN: 1
; COMPUTE_PGM_RSRC2:USER_SGPR: 6
; COMPUTE_PGM_RSRC2:TRAP_HANDLER: 0
; COMPUTE_PGM_RSRC2:TGID_X_EN: 1
; COMPUTE_PGM_RSRC2:TGID_Y_EN: 0
; COMPUTE_PGM_RSRC2:TGID_Z_EN: 0
; COMPUTE_PGM_RSRC2:TIDIG_COMP_CNT: 0
	.type	__hip_cuid_1c2bf482c999aeb3,@object ; @__hip_cuid_1c2bf482c999aeb3
	.section	.bss,"aw",@nobits
	.globl	__hip_cuid_1c2bf482c999aeb3
__hip_cuid_1c2bf482c999aeb3:
	.byte	0                               ; 0x0
	.size	__hip_cuid_1c2bf482c999aeb3, 1

	.ident	"AMD clang version 19.0.0git (https://github.com/RadeonOpenCompute/llvm-project roc-6.4.0 25133 c7fe45cf4b819c5991fe208aaa96edf142730f1d)"
	.section	".note.GNU-stack","",@progbits
	.addrsig
	.addrsig_sym __hip_cuid_1c2bf482c999aeb3
	.amdgpu_metadata
---
amdhsa.kernels:
  - .args:
      - .actual_access:  read_only
        .address_space:  global
        .offset:         0
        .size:           8
        .value_kind:     global_buffer
      - .actual_access:  read_only
        .address_space:  global
        .offset:         8
        .size:           8
        .value_kind:     global_buffer
      - .actual_access:  read_only
        .address_space:  global
        .offset:         16
        .size:           8
        .value_kind:     global_buffer
      - .actual_access:  read_only
        .address_space:  global
        .offset:         24
        .size:           8
        .value_kind:     global_buffer
      - .actual_access:  read_only
        .address_space:  global
        .offset:         32
        .size:           8
        .value_kind:     global_buffer
      - .offset:         40
        .size:           8
        .value_kind:     by_value
      - .address_space:  global
        .offset:         48
        .size:           8
        .value_kind:     global_buffer
      - .address_space:  global
        .offset:         56
        .size:           8
        .value_kind:     global_buffer
      - .address_space:  global
        .offset:         64
        .size:           8
        .value_kind:     global_buffer
      - .address_space:  global
        .offset:         72
        .size:           8
        .value_kind:     global_buffer
      - .offset:         80
        .size:           4
        .value_kind:     by_value
      - .address_space:  global
        .offset:         88
        .size:           8
        .value_kind:     global_buffer
      - .address_space:  global
        .offset:         96
        .size:           8
        .value_kind:     global_buffer
    .group_segment_fixed_size: 22848
    .kernarg_segment_align: 8
    .kernarg_segment_size: 104
    .language:       OpenCL C
    .language_version:
      - 2
      - 0
    .max_flat_workgroup_size: 102
    .name:           bluestein_single_fwd_len476_dim1_dp_op_CI_CI
    .private_segment_fixed_size: 384
    .sgpr_count:     68
    .sgpr_spill_count: 0
    .symbol:         bluestein_single_fwd_len476_dim1_dp_op_CI_CI.kd
    .uniform_work_group_size: 1
    .uses_dynamic_stack: false
    .vgpr_count:     256
    .vgpr_spill_count: 127
    .wavefront_size: 64
amdhsa.target:   amdgcn-amd-amdhsa--gfx906
amdhsa.version:
  - 1
  - 2
...

	.end_amdgpu_metadata
